;; amdgpu-corpus repo=ROCm/rocFFT kind=compiled arch=gfx906 opt=O3
	.text
	.amdgcn_target "amdgcn-amd-amdhsa--gfx906"
	.amdhsa_code_object_version 6
	.protected	fft_rtc_fwd_len169_factors_13_13_wgs_156_tpt_13_dp_ip_CI_sbcc_twdbase8_2step_dirReg_intrinsicReadWrite ; -- Begin function fft_rtc_fwd_len169_factors_13_13_wgs_156_tpt_13_dp_ip_CI_sbcc_twdbase8_2step_dirReg_intrinsicReadWrite
	.globl	fft_rtc_fwd_len169_factors_13_13_wgs_156_tpt_13_dp_ip_CI_sbcc_twdbase8_2step_dirReg_intrinsicReadWrite
	.p2align	8
	.type	fft_rtc_fwd_len169_factors_13_13_wgs_156_tpt_13_dp_ip_CI_sbcc_twdbase8_2step_dirReg_intrinsicReadWrite,@function
fft_rtc_fwd_len169_factors_13_13_wgs_156_tpt_13_dp_ip_CI_sbcc_twdbase8_2step_dirReg_intrinsicReadWrite: ; @fft_rtc_fwd_len169_factors_13_13_wgs_156_tpt_13_dp_ip_CI_sbcc_twdbase8_2step_dirReg_intrinsicReadWrite
; %bb.0:
	s_load_dwordx4 s[0:3], s[4:5], 0x18
	s_mov_b32 s7, 0
	s_mov_b64 s[22:23], 0
	s_waitcnt lgkmcnt(0)
	s_load_dwordx2 s[10:11], s[0:1], 0x8
	s_waitcnt lgkmcnt(0)
	s_add_u32 s8, s10, -1
	s_addc_u32 s9, s11, -1
	s_add_u32 s12, 0, 0x55540000
	s_addc_u32 s13, 0, 0x55
	s_mul_hi_u32 s15, s12, -12
	s_add_i32 s13, s13, 0x15555500
	s_sub_i32 s15, s15, s12
	s_mul_i32 s18, s13, -12
	s_mul_i32 s14, s12, -12
	s_add_i32 s15, s15, s18
	s_mul_hi_u32 s16, s13, s14
	s_mul_i32 s17, s13, s14
	s_mul_i32 s19, s12, s15
	s_mul_hi_u32 s14, s12, s14
	s_mul_hi_u32 s18, s12, s15
	s_add_u32 s14, s14, s19
	s_addc_u32 s18, 0, s18
	s_add_u32 s14, s14, s17
	s_mul_hi_u32 s19, s13, s15
	s_addc_u32 s14, s18, s16
	s_addc_u32 s16, s19, 0
	s_mul_i32 s15, s13, s15
	s_add_u32 s14, s14, s15
	v_mov_b32_e32 v1, s14
	s_addc_u32 s15, 0, s16
	v_add_co_u32_e32 v1, vcc, s12, v1
	s_cmp_lg_u64 vcc, 0
	s_addc_u32 s12, s13, s15
	v_readfirstlane_b32 s15, v1
	s_mul_i32 s14, s8, s12
	s_mul_hi_u32 s16, s8, s15
	s_mul_hi_u32 s13, s8, s12
	s_add_u32 s14, s16, s14
	s_addc_u32 s13, 0, s13
	s_mul_hi_u32 s17, s9, s15
	s_mul_i32 s15, s9, s15
	s_add_u32 s14, s14, s15
	s_mul_hi_u32 s16, s9, s12
	s_addc_u32 s13, s13, s17
	s_addc_u32 s14, s16, 0
	s_mul_i32 s12, s9, s12
	s_add_u32 s12, s13, s12
	s_addc_u32 s13, 0, s14
	s_add_u32 s14, s12, 1
	s_addc_u32 s15, s13, 0
	s_add_u32 s16, s12, 2
	s_mul_i32 s18, s13, 12
	s_mul_hi_u32 s19, s12, 12
	s_addc_u32 s17, s13, 0
	s_add_i32 s19, s19, s18
	s_mul_i32 s18, s12, 12
	v_mov_b32_e32 v1, s18
	v_sub_co_u32_e32 v1, vcc, s8, v1
	s_cmp_lg_u64 vcc, 0
	s_subb_u32 s8, s9, s19
	v_subrev_co_u32_e32 v2, vcc, 12, v1
	s_cmp_lg_u64 vcc, 0
	s_subb_u32 s9, s8, 0
	v_readfirstlane_b32 s18, v2
	s_cmp_gt_u32 s18, 11
	s_cselect_b32 s18, -1, 0
	s_cmp_eq_u32 s9, 0
	s_cselect_b32 s9, s18, -1
	s_cmp_lg_u32 s9, 0
	s_cselect_b32 s9, s16, s14
	s_cselect_b32 s14, s17, s15
	v_readfirstlane_b32 s15, v1
	s_cmp_gt_u32 s15, 11
	s_cselect_b32 s15, -1, 0
	s_cmp_eq_u32 s8, 0
	s_cselect_b32 s8, s15, -1
	s_cmp_lg_u32 s8, 0
	s_cselect_b32 s9, s9, s12
	s_cselect_b32 s8, s14, s13
	s_add_u32 s20, s9, 1
	s_addc_u32 s21, s8, 0
	v_mov_b32_e32 v1, s20
	v_mov_b32_e32 v2, s21
	v_cmp_lt_u64_e32 vcc, s[6:7], v[1:2]
	s_cbranch_vccnz .LBB0_2
; %bb.1:
	v_cvt_f32_u32_e32 v1, s20
	s_sub_i32 s8, 0, s20
	s_mov_b32 s23, s7
	v_rcp_iflag_f32_e32 v1, v1
	v_mul_f32_e32 v1, 0x4f7ffffe, v1
	v_cvt_u32_f32_e32 v1, v1
	v_readfirstlane_b32 s9, v1
	s_mul_i32 s8, s8, s9
	s_mul_hi_u32 s8, s9, s8
	s_add_i32 s9, s9, s8
	s_mul_hi_u32 s8, s6, s9
	s_mul_i32 s12, s8, s20
	s_sub_i32 s12, s6, s12
	s_add_i32 s9, s8, 1
	s_sub_i32 s13, s12, s20
	s_cmp_ge_u32 s12, s20
	s_cselect_b32 s8, s9, s8
	s_cselect_b32 s12, s13, s12
	s_add_i32 s9, s8, 1
	s_cmp_ge_u32 s12, s20
	s_cselect_b32 s22, s9, s8
.LBB0_2:
	s_load_dwordx2 s[8:9], s[4:5], 0x58
	s_load_dwordx4 s[12:15], s[2:3], 0x0
	s_load_dwordx2 s[34:35], s[4:5], 0x0
	s_load_dwordx4 s[16:19], s[4:5], 0x8
	s_mul_i32 s4, s22, s21
	s_mul_hi_u32 s5, s22, s20
	s_add_i32 s5, s5, s4
	s_mul_i32 s4, s22, s20
	s_sub_u32 s33, s6, s4
	s_subb_u32 s4, 0, s5
	s_mul_i32 s4, s4, 12
	s_waitcnt lgkmcnt(0)
	s_mul_hi_u32 s13, s33, 12
	s_add_i32 s13, s13, s4
	s_mul_i32 s33, s33, 12
	s_mul_i32 s4, s14, s13
	s_mul_hi_u32 s5, s14, s33
	s_add_i32 s4, s5, s4
	s_mul_i32 s5, s15, s33
	s_add_i32 s38, s4, s5
	v_cmp_lt_u64_e64 s[4:5], s[18:19], 3
	s_mul_i32 s15, s14, s33
	s_and_b64 vcc, exec, s[4:5]
	s_cbranch_vccnz .LBB0_10
; %bb.3:
	s_add_u32 s4, s2, 16
	s_addc_u32 s5, s3, 0
	s_add_u32 s24, s0, 16
	v_mov_b32_e32 v1, s18
	s_addc_u32 s25, s1, 0
	s_mov_b64 s[26:27], 2
	s_mov_b32 s28, 0
	v_mov_b32_e32 v2, s19
.LBB0_4:                                ; =>This Inner Loop Header: Depth=1
	s_load_dwordx2 s[30:31], s[24:25], 0x0
	s_waitcnt lgkmcnt(0)
	s_or_b64 s[0:1], s[22:23], s[30:31]
	s_mov_b32 s29, s1
	s_cmp_lg_u64 s[28:29], 0
	s_cbranch_scc0 .LBB0_9
; %bb.5:                                ;   in Loop: Header=BB0_4 Depth=1
	v_cvt_f32_u32_e32 v3, s30
	v_cvt_f32_u32_e32 v4, s31
	s_sub_u32 s0, 0, s30
	s_subb_u32 s1, 0, s31
	v_mac_f32_e32 v3, 0x4f800000, v4
	v_rcp_f32_e32 v3, v3
	v_mul_f32_e32 v3, 0x5f7ffffc, v3
	v_mul_f32_e32 v4, 0x2f800000, v3
	v_trunc_f32_e32 v4, v4
	v_mac_f32_e32 v3, 0xcf800000, v4
	v_cvt_u32_f32_e32 v4, v4
	v_cvt_u32_f32_e32 v3, v3
	v_readfirstlane_b32 s29, v4
	v_readfirstlane_b32 s36, v3
	s_mul_i32 s37, s0, s29
	s_mul_hi_u32 s40, s0, s36
	s_mul_i32 s39, s1, s36
	s_add_i32 s37, s40, s37
	s_mul_i32 s41, s0, s36
	s_add_i32 s37, s37, s39
	s_mul_hi_u32 s39, s36, s37
	s_mul_i32 s40, s36, s37
	s_mul_hi_u32 s36, s36, s41
	s_add_u32 s36, s36, s40
	s_addc_u32 s39, 0, s39
	s_mul_hi_u32 s42, s29, s41
	s_mul_i32 s41, s29, s41
	s_add_u32 s36, s36, s41
	s_mul_hi_u32 s40, s29, s37
	s_addc_u32 s36, s39, s42
	s_addc_u32 s39, s40, 0
	s_mul_i32 s37, s29, s37
	s_add_u32 s36, s36, s37
	s_addc_u32 s37, 0, s39
	v_add_co_u32_e32 v3, vcc, s36, v3
	s_cmp_lg_u64 vcc, 0
	s_addc_u32 s29, s29, s37
	v_readfirstlane_b32 s37, v3
	s_mul_i32 s36, s0, s29
	s_mul_hi_u32 s39, s0, s37
	s_add_i32 s36, s39, s36
	s_mul_i32 s1, s1, s37
	s_add_i32 s36, s36, s1
	s_mul_i32 s0, s0, s37
	s_mul_hi_u32 s39, s29, s0
	s_mul_i32 s40, s29, s0
	s_mul_i32 s42, s37, s36
	s_mul_hi_u32 s0, s37, s0
	s_mul_hi_u32 s41, s37, s36
	s_add_u32 s0, s0, s42
	s_addc_u32 s37, 0, s41
	s_add_u32 s0, s0, s40
	s_mul_hi_u32 s1, s29, s36
	s_addc_u32 s0, s37, s39
	s_addc_u32 s1, s1, 0
	s_mul_i32 s36, s29, s36
	s_add_u32 s0, s0, s36
	s_addc_u32 s1, 0, s1
	v_add_co_u32_e32 v3, vcc, s0, v3
	s_cmp_lg_u64 vcc, 0
	s_addc_u32 s0, s29, s1
	v_readfirstlane_b32 s36, v3
	s_mul_i32 s29, s22, s0
	s_mul_hi_u32 s37, s22, s36
	s_mul_hi_u32 s1, s22, s0
	s_add_u32 s29, s37, s29
	s_addc_u32 s1, 0, s1
	s_mul_hi_u32 s39, s23, s36
	s_mul_i32 s36, s23, s36
	s_add_u32 s29, s29, s36
	s_mul_hi_u32 s37, s23, s0
	s_addc_u32 s1, s1, s39
	s_addc_u32 s29, s37, 0
	s_mul_i32 s0, s23, s0
	s_add_u32 s36, s1, s0
	s_addc_u32 s29, 0, s29
	s_mul_i32 s0, s30, s29
	s_mul_hi_u32 s1, s30, s36
	s_add_i32 s0, s1, s0
	s_mul_i32 s1, s31, s36
	s_add_i32 s37, s0, s1
	s_mul_i32 s1, s30, s36
	v_mov_b32_e32 v3, s1
	s_sub_i32 s0, s23, s37
	v_sub_co_u32_e32 v3, vcc, s22, v3
	s_cmp_lg_u64 vcc, 0
	s_subb_u32 s39, s0, s31
	v_subrev_co_u32_e64 v4, s[0:1], s30, v3
	s_cmp_lg_u64 s[0:1], 0
	s_subb_u32 s0, s39, 0
	s_cmp_ge_u32 s0, s31
	v_readfirstlane_b32 s39, v4
	s_cselect_b32 s1, -1, 0
	s_cmp_ge_u32 s39, s30
	s_cselect_b32 s39, -1, 0
	s_cmp_eq_u32 s0, s31
	s_cselect_b32 s0, s39, s1
	s_add_u32 s1, s36, 1
	s_addc_u32 s39, s29, 0
	s_add_u32 s40, s36, 2
	s_addc_u32 s41, s29, 0
	s_cmp_lg_u32 s0, 0
	s_cselect_b32 s0, s40, s1
	s_cselect_b32 s1, s41, s39
	s_cmp_lg_u64 vcc, 0
	s_subb_u32 s37, s23, s37
	s_cmp_ge_u32 s37, s31
	v_readfirstlane_b32 s40, v3
	s_cselect_b32 s39, -1, 0
	s_cmp_ge_u32 s40, s30
	s_cselect_b32 s40, -1, 0
	s_cmp_eq_u32 s37, s31
	s_cselect_b32 s37, s40, s39
	s_cmp_lg_u32 s37, 0
	s_cselect_b32 s1, s1, s29
	s_cselect_b32 s0, s0, s36
	s_cbranch_execnz .LBB0_7
.LBB0_6:                                ;   in Loop: Header=BB0_4 Depth=1
	v_cvt_f32_u32_e32 v3, s30
	s_sub_i32 s0, 0, s30
	v_rcp_iflag_f32_e32 v3, v3
	v_mul_f32_e32 v3, 0x4f7ffffe, v3
	v_cvt_u32_f32_e32 v3, v3
	v_readfirstlane_b32 s1, v3
	s_mul_i32 s0, s0, s1
	s_mul_hi_u32 s0, s1, s0
	s_add_i32 s1, s1, s0
	s_mul_hi_u32 s0, s22, s1
	s_mul_i32 s29, s0, s30
	s_sub_i32 s29, s22, s29
	s_add_i32 s1, s0, 1
	s_sub_i32 s36, s29, s30
	s_cmp_ge_u32 s29, s30
	s_cselect_b32 s0, s1, s0
	s_cselect_b32 s29, s36, s29
	s_add_i32 s1, s0, 1
	s_cmp_ge_u32 s29, s30
	s_cselect_b32 s0, s1, s0
	s_mov_b32 s1, s28
.LBB0_7:                                ;   in Loop: Header=BB0_4 Depth=1
	s_mul_i32 s21, s30, s21
	s_mul_hi_u32 s29, s30, s20
	s_add_i32 s21, s29, s21
	s_mul_i32 s29, s31, s20
	s_add_i32 s21, s21, s29
	s_mul_i32 s29, s0, s31
	s_mul_hi_u32 s31, s0, s30
	s_load_dwordx2 s[36:37], s[4:5], 0x0
	s_add_i32 s29, s31, s29
	s_mul_i32 s31, s1, s30
	s_mul_i32 s20, s30, s20
	s_add_i32 s29, s29, s31
	s_mul_i32 s30, s0, s30
	s_sub_u32 s22, s22, s30
	s_subb_u32 s23, s23, s29
	s_waitcnt lgkmcnt(0)
	s_mul_i32 s23, s36, s23
	s_mul_hi_u32 s29, s36, s22
	s_add_i32 s23, s29, s23
	s_mul_i32 s29, s37, s22
	s_add_i32 s23, s23, s29
	s_mul_i32 s22, s36, s22
	s_add_u32 s15, s22, s15
	s_addc_u32 s38, s23, s38
	s_add_u32 s26, s26, 1
	s_addc_u32 s27, s27, 0
	;; [unrolled: 2-line block ×3, first 2 shown]
	v_cmp_ge_u64_e32 vcc, s[26:27], v[1:2]
	s_add_u32 s24, s24, 8
	s_addc_u32 s25, s25, 0
	s_cbranch_vccnz .LBB0_11
; %bb.8:                                ;   in Loop: Header=BB0_4 Depth=1
	s_mov_b64 s[22:23], s[0:1]
	s_branch .LBB0_4
.LBB0_9:                                ;   in Loop: Header=BB0_4 Depth=1
                                        ; implicit-def: $sgpr0_sgpr1
	s_branch .LBB0_6
.LBB0_10:
	v_mov_b32_e32 v1, s22
	v_mov_b32_e32 v2, s23
	s_branch .LBB0_13
.LBB0_11:
	v_mov_b32_e32 v1, s20
	v_mov_b32_e32 v2, s21
	v_cmp_lt_u64_e32 vcc, s[6:7], v[1:2]
	v_mov_b32_e32 v1, 0
	v_mov_b32_e32 v2, 0
	s_cbranch_vccnz .LBB0_13
; %bb.12:
	v_cvt_f32_u32_e32 v1, s20
	s_sub_i32 s0, 0, s20
	v_rcp_iflag_f32_e32 v1, v1
	v_mul_f32_e32 v1, 0x4f7ffffe, v1
	v_cvt_u32_f32_e32 v1, v1
	v_mul_lo_u32 v2, s0, v1
	v_mul_hi_u32 v2, v1, v2
	v_add_u32_e32 v1, v1, v2
	v_mul_hi_u32 v1, s6, v1
	v_mul_lo_u32 v2, v1, s20
	v_add_u32_e32 v3, 1, v1
	v_sub_u32_e32 v2, s6, v2
	v_subrev_u32_e32 v4, s20, v2
	v_cmp_le_u32_e32 vcc, s20, v2
	v_cndmask_b32_e32 v2, v2, v4, vcc
	v_cndmask_b32_e32 v1, v1, v3, vcc
	v_add_u32_e32 v3, 1, v1
	v_cmp_le_u32_e32 vcc, s20, v2
	v_cndmask_b32_e32 v1, v1, v3, vcc
.LBB0_13:
	s_lshl_b64 s[0:1], s[18:19], 3
	s_add_u32 s0, s2, s0
	s_addc_u32 s1, s3, s1
	s_load_dword s0, s[0:1], 0x0
	v_mul_u32_u24_e32 v2, 0x1556, v0
	v_lshrrev_b32_e32 v76, 16, v2
	v_mul_lo_u16_e32 v2, 12, v76
	v_sub_u16_e32 v77, v0, v2
	s_waitcnt lgkmcnt(0)
	v_mul_lo_u32 v1, s0, v1
	v_mov_b32_e32 v3, s13
	v_add_co_u32_e32 v41, vcc, s33, v77
	v_add_u32_e32 v4, s15, v1
	v_addc_co_u32_e32 v42, vcc, 0, v3, vcc
	s_add_u32 s0, s33, 12
	v_mul_lo_u32 v113, s14, v77
	v_mul_lo_u32 v3, s12, v76
	v_mov_b32_e32 v1, s10
	s_addc_u32 s1, s13, 0
	v_mov_b32_e32 v2, s11
	v_cmp_le_u64_e32 vcc, s[0:1], v[1:2]
	v_cmp_gt_u64_e64 s[0:1], s[10:11], v[41:42]
	v_add_lshl_u32 v1, v113, v3, 4
	s_or_b64 vcc, vcc, s[0:1]
	v_cndmask_b32_e32 v5, -1, v1, vcc
	v_add_u32_e32 v1, 13, v76
	v_mul_lo_u32 v1, s12, v1
	v_lshlrev_b32_e32 v2, 4, v4
	s_mov_b32 s11, 0x20000
	s_mov_b32 s10, -2
	v_readfirstlane_b32 s13, v2
	v_add_lshl_u32 v1, v113, v1, 4
	v_cndmask_b32_e32 v6, -1, v1, vcc
	s_nop 2
	buffer_load_dwordx4 v[29:32], v5, s[8:11], s13 offen
	buffer_load_dwordx4 v[1:4], v6, s[8:11], s13 offen
	v_add_u32_e32 v5, 26, v76
	v_mul_lo_u32 v5, s12, v5
	v_add_u32_e32 v9, 0x5b, v76
	v_mul_lo_u32 v9, s12, v9
	v_add_u32_e32 v6, 39, v76
	v_add_lshl_u32 v5, v113, v5, 4
	v_mul_lo_u32 v6, s12, v6
	v_cndmask_b32_e32 v5, -1, v5, vcc
	buffer_load_dwordx4 v[37:40], v5, s[8:11], s13 offen
	v_add_lshl_u32 v9, v113, v9, 4
	v_cndmask_b32_e32 v9, -1, v9, vcc
	buffer_load_dwordx4 v[9:12], v9, s[8:11], s13 offen
	v_add_lshl_u32 v5, v113, v6, 4
	v_add_u32_e32 v6, 0x9c, v76
	v_mul_lo_u32 v6, s12, v6
	v_cndmask_b32_e32 v5, -1, v5, vcc
	buffer_load_dwordx4 v[33:36], v5, s[8:11], s13 offen
	v_add_u32_e32 v17, 0x68, v76
	v_add_lshl_u32 v6, v113, v6, 4
	v_cndmask_b32_e32 v6, -1, v6, vcc
	buffer_load_dwordx4 v[42:45], v6, s[8:11], s13 offen
	v_add_u32_e32 v5, 52, v76
	v_mul_lo_u32 v5, s12, v5
	v_mul_lo_u32 v17, s12, v17
	v_add_u32_e32 v25, 0x75, v76
	v_mul_lo_u32 v25, s12, v25
	v_add_lshl_u32 v5, v113, v5, 4
	v_cndmask_b32_e32 v5, -1, v5, vcc
	v_add_lshl_u32 v17, v113, v17, 4
	buffer_load_dwordx4 v[21:24], v5, s[8:11], s13 offen
	v_cndmask_b32_e32 v17, -1, v17, vcc
	buffer_load_dwordx4 v[17:20], v17, s[8:11], s13 offen
	v_add_u32_e32 v5, 0x41, v76
	v_mul_lo_u32 v5, s12, v5
	v_add_lshl_u32 v25, v113, v25, 4
	v_cndmask_b32_e32 v25, -1, v25, vcc
	buffer_load_dwordx4 v[25:28], v25, s[8:11], s13 offen
	v_add_lshl_u32 v5, v113, v5, 4
	v_cndmask_b32_e32 v5, -1, v5, vcc
	buffer_load_dwordx4 v[13:16], v5, s[8:11], s13 offen
	v_add_u32_e32 v5, 0x4e, v76
	v_mul_lo_u32 v5, s12, v5
	v_add_u32_e32 v46, 0x82, v76
	v_mul_lo_u32 v46, s12, v46
	v_add_u32_e32 v47, 0x8f, v76
	v_add_lshl_u32 v5, v113, v5, 4
	v_cndmask_b32_e32 v5, -1, v5, vcc
	buffer_load_dwordx4 v[5:8], v5, s[8:11], s13 offen
	v_add_lshl_u32 v46, v113, v46, 4
	v_cndmask_b32_e32 v46, -1, v46, vcc
	v_mul_lo_u32 v50, s12, v47
	buffer_load_dwordx4 v[46:49], v46, s[8:11], s13 offen
	s_mov_b32 s42, 0x4267c47c
	s_mov_b32 s43, 0xbfddbe06
	v_add_lshl_u32 v50, v113, v50, 4
	v_cndmask_b32_e32 v50, -1, v50, vcc
	buffer_load_dwordx4 v[50:53], v50, s[8:11], s13 offen
	s_mov_b32 s6, 0xe00740e9
	s_mov_b32 s7, 0x3fec55a7
	;; [unrolled: 1-line block ×22, first 2 shown]
	s_waitcnt vmcnt(11)
	v_add_f64 v[56:57], v[31:32], v[3:4]
	v_add_f64 v[54:55], v[29:30], v[1:2]
	s_mov_b32 s41, 0x3fe5384d
	s_mov_b32 s40, s20
	;; [unrolled: 1-line block ×7, first 2 shown]
	s_waitcnt vmcnt(10)
	v_add_f64 v[56:57], v[56:57], v[39:40]
	v_add_f64 v[54:55], v[54:55], v[37:38]
	s_mov_b32 s44, s18
	s_mov_b32 s47, 0x3fcea1e5
	;; [unrolled: 1-line block ×5, first 2 shown]
	s_movk_i32 s33, 0xf700
	s_waitcnt vmcnt(8)
	v_add_f64 v[56:57], v[56:57], v[35:36]
	v_add_f64 v[54:55], v[54:55], v[33:34]
	v_mul_u32_u24_e32 v0, 0x1a5, v0
	s_waitcnt vmcnt(7)
	v_add_f64 v[60:61], v[1:2], -v[42:43]
	v_add_f64 v[58:59], v[3:4], -v[44:45]
	v_add_f64 v[64:65], v[3:4], v[44:45]
	v_add_f64 v[62:63], v[1:2], v[42:43]
	v_mul_f64 v[3:4], v[60:61], s[42:43]
	s_waitcnt vmcnt(6)
	v_add_f64 v[56:57], v[56:57], v[23:24]
	v_add_f64 v[54:55], v[54:55], v[21:22]
	v_mul_f64 v[1:2], v[58:59], s[42:43]
	v_mul_f64 v[82:83], v[60:61], s[20:21]
	;; [unrolled: 1-line block ×5, first 2 shown]
	v_fma_f64 v[86:87], v[64:65], s[6:7], v[3:4]
	v_fma_f64 v[3:4], v[64:65], s[6:7], -v[3:4]
	v_mul_f64 v[80:81], v[58:59], s[20:21]
	s_waitcnt vmcnt(3)
	v_add_f64 v[56:57], v[56:57], v[15:16]
	v_add_f64 v[54:55], v[54:55], v[13:14]
	v_fma_f64 v[84:85], v[62:63], s[6:7], -v[1:2]
	v_fma_f64 v[1:2], v[62:63], s[6:7], v[1:2]
	v_fma_f64 v[102:103], v[64:65], s[22:23], v[82:83]
	v_mul_f64 v[66:67], v[58:59], s[36:37]
	v_add_f64 v[106:107], v[31:32], v[3:4]
	v_mul_f64 v[70:71], v[58:59], s[38:39]
	s_waitcnt vmcnt(2)
	v_add_f64 v[56:57], v[56:57], v[7:8]
	v_add_f64 v[54:55], v[54:55], v[5:6]
	v_mul_f64 v[74:75], v[58:59], s[18:19]
	v_add_f64 v[104:105], v[29:30], v[1:2]
	v_fma_f64 v[90:91], v[64:65], s[4:5], v[68:69]
	v_fma_f64 v[68:69], v[64:65], s[4:5], -v[68:69]
	v_fma_f64 v[94:95], v[64:65], s[0:1], v[72:73]
	v_fma_f64 v[98:99], v[64:65], s[14:15], v[78:79]
	v_add_f64 v[56:57], v[56:57], v[11:12]
	v_add_f64 v[54:55], v[54:55], v[9:10]
	v_fma_f64 v[100:101], v[62:63], s[22:23], -v[80:81]
	v_mul_f64 v[60:61], v[60:61], s[28:29]
	v_fma_f64 v[88:89], v[62:63], s[4:5], -v[66:67]
	v_fma_f64 v[66:67], v[62:63], s[4:5], v[66:67]
	v_fma_f64 v[92:93], v[62:63], s[0:1], -v[70:71]
	v_fma_f64 v[72:73], v[64:65], s[0:1], -v[72:73]
	v_add_f64 v[56:57], v[56:57], v[19:20]
	v_add_f64 v[54:55], v[54:55], v[17:18]
	v_fma_f64 v[96:97], v[62:63], s[14:15], -v[74:75]
	v_fma_f64 v[78:79], v[64:65], s[14:15], -v[78:79]
	v_add_f64 v[86:87], v[31:32], v[86:87]
	v_mul_f64 v[58:59], v[58:59], s[28:29]
	v_fma_f64 v[70:71], v[62:63], s[0:1], v[70:71]
	v_fma_f64 v[74:75], v[62:63], s[14:15], v[74:75]
	v_add_f64 v[56:57], v[56:57], v[27:28]
	v_add_f64 v[54:55], v[54:55], v[25:26]
	;; [unrolled: 1-line block ×8, first 2 shown]
	s_waitcnt vmcnt(1)
	v_add_f64 v[3:4], v[56:57], v[48:49]
	v_add_f64 v[1:2], v[54:55], v[46:47]
	;; [unrolled: 1-line block ×6, first 2 shown]
	v_fma_f64 v[102:103], v[64:65], s[24:25], v[60:61]
	v_fma_f64 v[60:61], v[64:65], s[24:25], -v[60:61]
	s_waitcnt vmcnt(0)
	v_add_f64 v[3:4], v[3:4], v[52:53]
	v_add_f64 v[1:2], v[1:2], v[50:51]
	;; [unrolled: 1-line block ×6, first 2 shown]
	v_fma_f64 v[100:101], v[62:63], s[24:25], -v[58:59]
	v_fma_f64 v[58:59], v[62:63], s[24:25], v[58:59]
	v_add_f64 v[3:4], v[3:4], v[44:45]
	v_fma_f64 v[44:45], v[64:65], s[22:23], -v[82:83]
	v_add_f64 v[82:83], v[37:38], -v[50:51]
	v_add_f64 v[1:2], v[1:2], v[42:43]
	v_fma_f64 v[42:43], v[62:63], s[22:23], v[80:81]
	v_add_f64 v[80:81], v[39:40], -v[52:53]
	v_add_f64 v[39:40], v[39:40], v[52:53]
	v_add_f64 v[37:38], v[37:38], v[50:51]
	;; [unrolled: 1-line block ×4, first 2 shown]
	v_mul_f64 v[52:53], v[82:83], s[36:37]
	v_add_f64 v[31:32], v[31:32], v[60:61]
	v_mul_f64 v[60:61], v[82:83], s[18:19]
	v_mul_f64 v[50:51], v[80:81], s[36:37]
	v_add_f64 v[74:75], v[29:30], v[74:75]
	v_add_f64 v[42:43], v[29:30], v[42:43]
	;; [unrolled: 1-line block ×4, first 2 shown]
	v_fma_f64 v[64:65], v[39:40], s[4:5], v[52:53]
	v_mul_f64 v[58:59], v[80:81], s[18:19]
	v_fma_f64 v[110:111], v[39:40], s[14:15], v[60:61]
	v_fma_f64 v[62:63], v[37:38], s[4:5], -v[50:51]
	v_fma_f64 v[60:61], v[39:40], s[14:15], -v[60:61]
	;; [unrolled: 1-line block ×3, first 2 shown]
	v_fma_f64 v[50:51], v[37:38], s[4:5], v[50:51]
	v_add_f64 v[64:65], v[64:65], v[86:87]
	v_mul_f64 v[86:87], v[82:83], s[28:29]
	v_fma_f64 v[108:109], v[37:38], s[14:15], -v[58:59]
	v_add_f64 v[62:63], v[62:63], v[84:85]
	v_mul_f64 v[84:85], v[80:81], s[28:29]
	v_fma_f64 v[58:59], v[37:38], s[14:15], v[58:59]
	v_add_f64 v[56:57], v[60:61], v[56:57]
	v_add_f64 v[90:91], v[110:111], v[90:91]
	;; [unrolled: 1-line block ×3, first 2 shown]
	v_fma_f64 v[116:117], v[39:40], s[24:25], v[86:87]
	v_fma_f64 v[86:87], v[39:40], s[24:25], -v[86:87]
	v_add_f64 v[88:89], v[108:109], v[88:89]
	v_fma_f64 v[114:115], v[37:38], s[24:25], -v[84:85]
	v_add_f64 v[54:55], v[58:59], v[54:55]
	v_mul_f64 v[106:107], v[82:83], s[2:3]
	v_fma_f64 v[84:85], v[37:38], s[24:25], v[84:85]
	v_add_f64 v[50:51], v[50:51], v[104:105]
	v_add_f64 v[60:61], v[116:117], v[68:69]
	v_mul_f64 v[68:69], v[82:83], s[40:41]
	v_add_f64 v[72:73], v[86:87], v[72:73]
	v_add_f64 v[58:59], v[114:115], v[66:67]
	v_mul_f64 v[66:67], v[80:81], s[40:41]
	v_mul_f64 v[104:105], v[80:81], s[2:3]
	v_fma_f64 v[116:117], v[39:40], s[0:1], v[106:107]
	v_add_f64 v[70:71], v[84:85], v[70:71]
	v_mul_f64 v[82:83], v[82:83], s[26:27]
	v_fma_f64 v[110:111], v[39:40], s[22:23], v[68:69]
	v_fma_f64 v[68:69], v[39:40], s[22:23], -v[68:69]
	v_mul_f64 v[80:81], v[80:81], s[26:27]
	v_fma_f64 v[108:109], v[37:38], s[22:23], -v[66:67]
	v_fma_f64 v[66:67], v[37:38], s[22:23], v[66:67]
	v_fma_f64 v[114:115], v[37:38], s[0:1], -v[104:105]
	v_add_f64 v[86:87], v[110:111], v[94:95]
	v_add_f64 v[94:95], v[33:34], -v[46:47]
	v_add_f64 v[68:69], v[68:69], v[78:79]
	v_add_f64 v[84:85], v[108:109], v[92:93]
	v_add_f64 v[92:93], v[35:36], -v[48:49]
	v_add_f64 v[35:36], v[35:36], v[48:49]
	v_add_f64 v[78:79], v[116:117], v[98:99]
	;; [unrolled: 1-line block ×3, first 2 shown]
	v_fma_f64 v[98:99], v[39:40], s[0:1], -v[106:107]
	v_mul_f64 v[48:49], v[94:95], s[38:39]
	v_fma_f64 v[106:107], v[39:40], s[6:7], v[82:83]
	v_fma_f64 v[39:40], v[39:40], s[6:7], -v[82:83]
	v_mul_f64 v[46:47], v[92:93], s[38:39]
	v_add_f64 v[66:67], v[66:67], v[74:75]
	v_add_f64 v[74:75], v[114:115], v[96:97]
	v_fma_f64 v[96:97], v[37:38], s[0:1], v[104:105]
	v_fma_f64 v[104:105], v[37:38], s[6:7], -v[80:81]
	v_fma_f64 v[82:83], v[35:36], s[0:1], v[48:49]
	v_fma_f64 v[37:38], v[37:38], s[6:7], v[80:81]
	v_add_f64 v[31:32], v[39:40], v[31:32]
	v_fma_f64 v[80:81], v[33:34], s[0:1], -v[46:47]
	v_fma_f64 v[48:49], v[35:36], s[0:1], -v[48:49]
	v_fma_f64 v[46:47], v[33:34], s[0:1], v[46:47]
	v_add_f64 v[42:43], v[96:97], v[42:43]
	v_add_f64 v[44:45], v[98:99], v[44:45]
	v_add_f64 v[39:40], v[82:83], v[64:65]
	v_mul_f64 v[82:83], v[94:95], s[44:45]
	v_add_f64 v[29:30], v[37:38], v[29:30]
	v_add_f64 v[37:38], v[80:81], v[62:63]
	v_mul_f64 v[62:63], v[92:93], s[28:29]
	v_mul_f64 v[64:65], v[94:95], s[28:29]
	;; [unrolled: 1-line block ×3, first 2 shown]
	v_add_f64 v[48:49], v[48:49], v[52:53]
	v_add_f64 v[96:97], v[104:105], v[100:101]
	v_fma_f64 v[52:53], v[35:36], s[14:15], v[82:83]
	v_add_f64 v[98:99], v[106:107], v[102:103]
	v_add_f64 v[46:47], v[46:47], v[50:51]
	v_fma_f64 v[100:101], v[33:34], s[24:25], -v[62:63]
	v_fma_f64 v[102:103], v[35:36], s[24:25], v[64:65]
	v_fma_f64 v[62:63], v[33:34], s[24:25], v[62:63]
	v_fma_f64 v[64:65], v[35:36], s[24:25], -v[64:65]
	v_fma_f64 v[50:51], v[33:34], s[14:15], -v[80:81]
	v_add_f64 v[52:53], v[52:53], v[60:61]
	v_fma_f64 v[60:61], v[35:36], s[14:15], -v[82:83]
	v_mul_f64 v[82:83], v[94:95], s[36:37]
	v_add_f64 v[88:89], v[100:101], v[88:89]
	v_add_f64 v[90:91], v[102:103], v[90:91]
	;; [unrolled: 1-line block ×4, first 2 shown]
	v_mul_f64 v[62:63], v[92:93], s[26:27]
	v_mul_f64 v[64:65], v[94:95], s[26:27]
	v_add_f64 v[50:51], v[50:51], v[58:59]
	v_fma_f64 v[58:59], v[33:34], s[14:15], v[80:81]
	v_mul_f64 v[80:81], v[92:93], s[36:37]
	v_add_f64 v[60:61], v[60:61], v[72:73]
	v_fma_f64 v[72:73], v[35:36], s[4:5], v[82:83]
	v_fma_f64 v[82:83], v[35:36], s[4:5], -v[82:83]
	v_fma_f64 v[100:101], v[33:34], s[6:7], -v[62:63]
	v_fma_f64 v[102:103], v[35:36], s[6:7], v[64:65]
	v_fma_f64 v[62:63], v[33:34], s[6:7], v[62:63]
	v_fma_f64 v[64:65], v[35:36], s[6:7], -v[64:65]
	v_add_f64 v[58:59], v[58:59], v[70:71]
	v_fma_f64 v[70:71], v[33:34], s[4:5], -v[80:81]
	v_add_f64 v[72:73], v[72:73], v[78:79]
	v_add_f64 v[78:79], v[21:22], -v[25:26]
	v_fma_f64 v[80:81], v[33:34], s[4:5], v[80:81]
	v_add_f64 v[21:22], v[21:22], v[25:26]
	v_add_f64 v[62:63], v[62:63], v[66:67]
	;; [unrolled: 1-line block ×3, first 2 shown]
	v_mul_f64 v[66:67], v[92:93], s[20:21]
	v_mul_f64 v[68:69], v[94:95], s[20:21]
	v_add_f64 v[70:71], v[70:71], v[74:75]
	v_add_f64 v[74:75], v[23:24], -v[27:28]
	v_add_f64 v[23:24], v[23:24], v[27:28]
	v_mul_f64 v[27:28], v[78:79], s[18:19]
	v_add_f64 v[44:45], v[82:83], v[44:45]
	v_add_f64 v[42:43], v[80:81], v[42:43]
	v_fma_f64 v[92:93], v[33:34], s[22:23], -v[66:67]
	v_fma_f64 v[94:95], v[35:36], s[22:23], v[68:69]
	v_fma_f64 v[33:34], v[33:34], s[22:23], v[66:67]
	v_mul_f64 v[25:26], v[74:75], s[18:19]
	v_fma_f64 v[35:36], v[35:36], s[22:23], -v[68:69]
	v_fma_f64 v[82:83], v[23:24], s[14:15], v[27:28]
	v_fma_f64 v[27:28], v[23:24], s[14:15], -v[27:28]
	v_add_f64 v[84:85], v[100:101], v[84:85]
	v_add_f64 v[66:67], v[92:93], v[96:97]
	v_add_f64 v[68:69], v[94:95], v[98:99]
	v_add_f64 v[29:30], v[33:34], v[29:30]
	v_fma_f64 v[80:81], v[21:22], s[14:15], -v[25:26]
	v_add_f64 v[31:32], v[35:36], v[31:32]
	v_mul_f64 v[33:34], v[74:75], s[40:41]
	v_mul_f64 v[35:36], v[78:79], s[40:41]
	v_add_f64 v[39:40], v[82:83], v[39:40]
	v_mul_f64 v[82:83], v[78:79], s[26:27]
	v_fma_f64 v[25:26], v[21:22], s[14:15], v[25:26]
	v_add_f64 v[27:28], v[27:28], v[48:49]
	v_add_f64 v[37:38], v[80:81], v[37:38]
	v_mul_f64 v[80:81], v[74:75], s[26:27]
	v_fma_f64 v[92:93], v[21:22], s[22:23], -v[33:34]
	v_fma_f64 v[94:95], v[23:24], s[22:23], v[35:36]
	v_fma_f64 v[35:36], v[23:24], s[22:23], -v[35:36]
	v_fma_f64 v[48:49], v[23:24], s[6:7], v[82:83]
	v_add_f64 v[25:26], v[25:26], v[46:47]
	v_fma_f64 v[33:34], v[21:22], s[22:23], v[33:34]
	v_add_f64 v[86:87], v[102:103], v[86:87]
	v_fma_f64 v[46:47], v[21:22], s[6:7], -v[80:81]
	v_add_f64 v[88:89], v[92:93], v[88:89]
	v_add_f64 v[90:91], v[94:95], v[90:91]
	v_mul_f64 v[92:93], v[74:75], s[38:39]
	v_mul_f64 v[94:95], v[78:79], s[38:39]
	v_add_f64 v[35:36], v[35:36], v[56:57]
	v_add_f64 v[98:99], v[48:49], v[52:53]
	v_fma_f64 v[48:49], v[23:24], s[6:7], -v[82:83]
	v_mul_f64 v[56:57], v[78:79], s[46:47]
	v_add_f64 v[33:34], v[33:34], v[54:55]
	v_add_f64 v[96:97], v[46:47], v[50:51]
	v_fma_f64 v[46:47], v[21:22], s[6:7], v[80:81]
	v_fma_f64 v[50:51], v[21:22], s[0:1], -v[92:93]
	v_fma_f64 v[52:53], v[23:24], s[0:1], v[94:95]
	v_mul_f64 v[54:55], v[74:75], s[46:47]
	v_fma_f64 v[80:81], v[21:22], s[0:1], v[92:93]
	v_add_f64 v[92:93], v[48:49], v[60:61]
	v_fma_f64 v[48:49], v[23:24], s[24:25], v[56:57]
	v_fma_f64 v[82:83], v[23:24], s[0:1], -v[94:95]
	v_add_f64 v[58:59], v[46:47], v[58:59]
	v_add_f64 v[84:85], v[50:51], v[84:85]
	;; [unrolled: 1-line block ×3, first 2 shown]
	v_fma_f64 v[46:47], v[21:22], s[24:25], -v[54:55]
	v_mul_f64 v[50:51], v[74:75], s[30:31]
	v_mul_f64 v[52:53], v[78:79], s[30:31]
	v_add_f64 v[78:79], v[48:49], v[72:73]
	v_add_f64 v[72:73], v[15:16], -v[19:20]
	v_add_f64 v[74:75], v[13:14], -v[17:18]
	v_add_f64 v[80:81], v[80:81], v[62:63]
	v_fma_f64 v[48:49], v[23:24], s[24:25], -v[56:57]
	v_add_f64 v[70:71], v[46:47], v[70:71]
	v_fma_f64 v[46:47], v[21:22], s[24:25], v[54:55]
	v_add_f64 v[60:61], v[13:14], v[17:18]
	v_add_f64 v[62:63], v[15:16], v[19:20]
	v_mul_f64 v[13:14], v[72:73], s[20:21]
	v_mul_f64 v[15:16], v[74:75], s[20:21]
	v_fma_f64 v[17:18], v[21:22], s[4:5], v[50:51]
	v_fma_f64 v[19:20], v[23:24], s[4:5], -v[52:53]
	v_add_f64 v[64:65], v[82:83], v[64:65]
	v_fma_f64 v[82:83], v[21:22], s[4:5], -v[50:51]
	v_fma_f64 v[94:95], v[23:24], s[4:5], v[52:53]
	v_add_f64 v[54:55], v[46:47], v[42:43]
	v_add_f64 v[56:57], v[48:49], v[44:45]
	v_fma_f64 v[21:22], v[60:61], s[22:23], -v[13:14]
	v_fma_f64 v[23:24], v[62:63], s[22:23], v[15:16]
	v_add_f64 v[46:47], v[17:18], v[29:30]
	v_add_f64 v[48:49], v[19:20], v[31:32]
	v_mul_f64 v[17:18], v[72:73], s[2:3]
	v_mul_f64 v[19:20], v[74:75], s[2:3]
	v_fma_f64 v[13:14], v[60:61], s[22:23], v[13:14]
	v_fma_f64 v[15:16], v[62:63], s[22:23], -v[15:16]
	v_add_f64 v[50:51], v[21:22], v[37:38]
	v_add_f64 v[52:53], v[23:24], v[39:40]
	v_mul_f64 v[21:22], v[72:73], s[36:37]
	v_mul_f64 v[23:24], v[74:75], s[36:37]
	v_fma_f64 v[29:30], v[60:61], s[0:1], -v[17:18]
	v_fma_f64 v[31:32], v[62:63], s[0:1], v[19:20]
	v_add_f64 v[37:38], v[13:14], v[25:26]
	v_fma_f64 v[13:14], v[60:61], s[0:1], v[17:18]
	v_add_f64 v[39:40], v[15:16], v[27:28]
	v_fma_f64 v[15:16], v[62:63], s[0:1], -v[19:20]
	v_add_f64 v[66:67], v[82:83], v[66:67]
	v_fma_f64 v[17:18], v[60:61], s[4:5], -v[21:22]
	v_fma_f64 v[19:20], v[62:63], s[4:5], v[23:24]
	v_add_f64 v[42:43], v[29:30], v[88:89]
	v_add_f64 v[44:45], v[31:32], v[90:91]
	v_mul_f64 v[82:83], v[72:73], s[46:47]
	v_mul_f64 v[88:89], v[74:75], s[46:47]
	v_add_f64 v[25:26], v[13:14], v[33:34]
	v_fma_f64 v[13:14], v[60:61], s[4:5], v[21:22]
	v_mul_f64 v[90:91], v[72:73], s[26:27]
	v_add_f64 v[68:69], v[94:95], v[68:69]
	v_add_f64 v[27:28], v[15:16], v[35:36]
	v_fma_f64 v[15:16], v[62:63], s[4:5], -v[23:24]
	v_mul_f64 v[94:95], v[74:75], s[26:27]
	v_add_f64 v[29:30], v[17:18], v[96:97]
	v_add_f64 v[31:32], v[19:20], v[98:99]
	v_fma_f64 v[17:18], v[60:61], s[24:25], -v[82:83]
	v_fma_f64 v[19:20], v[62:63], s[24:25], v[88:89]
	v_fma_f64 v[82:83], v[60:61], s[24:25], v[82:83]
	v_fma_f64 v[88:89], v[62:63], s[24:25], -v[88:89]
	v_add_f64 v[33:34], v[13:14], v[58:59]
	v_fma_f64 v[13:14], v[60:61], s[6:7], -v[90:91]
	v_add_f64 v[35:36], v[15:16], v[92:93]
	v_fma_f64 v[15:16], v[62:63], s[6:7], v[94:95]
	v_mul_f64 v[72:73], v[72:73], s[18:19]
	v_add_f64 v[21:22], v[17:18], v[84:85]
	v_add_f64 v[23:24], v[19:20], v[86:87]
	;; [unrolled: 1-line block ×4, first 2 shown]
	v_fma_f64 v[58:59], v[60:61], s[6:7], v[90:91]
	v_fma_f64 v[80:81], v[62:63], s[6:7], -v[94:95]
	v_mul_f64 v[74:75], v[74:75], s[18:19]
	v_add_f64 v[13:14], v[13:14], v[70:71]
	v_add_f64 v[70:71], v[7:8], -v[11:12]
	v_add_f64 v[64:65], v[5:6], -v[9:10]
	v_add_f64 v[15:16], v[15:16], v[78:79]
	v_fma_f64 v[78:79], v[60:61], s[14:15], -v[72:73]
	v_add_f64 v[54:55], v[58:59], v[54:55]
	v_add_f64 v[56:57], v[80:81], v[56:57]
	v_fma_f64 v[80:81], v[62:63], s[14:15], v[74:75]
	v_add_f64 v[58:59], v[5:6], v[9:10]
	v_add_f64 v[9:10], v[7:8], v[11:12]
	v_mul_f64 v[5:6], v[70:71], s[28:29]
	v_mul_f64 v[7:8], v[64:65], s[28:29]
	v_fma_f64 v[72:73], v[60:61], s[14:15], v[72:73]
	v_fma_f64 v[74:75], v[62:63], s[14:15], -v[74:75]
	v_add_f64 v[11:12], v[78:79], v[66:67]
	v_mul_f64 v[66:67], v[70:71], s[26:27]
	v_add_f64 v[60:61], v[80:81], v[68:69]
	v_mul_f64 v[68:69], v[64:65], s[26:27]
	v_fma_f64 v[78:79], v[58:59], s[24:25], -v[5:6]
	v_fma_f64 v[80:81], v[9:10], s[24:25], v[7:8]
	v_add_f64 v[62:63], v[72:73], v[46:47]
	v_add_f64 v[46:47], v[74:75], v[48:49]
	v_fma_f64 v[48:49], v[58:59], s[24:25], v[5:6]
	v_fma_f64 v[74:75], v[58:59], s[6:7], -v[66:67]
	v_fma_f64 v[72:73], v[9:10], s[24:25], -v[7:8]
	v_fma_f64 v[82:83], v[9:10], s[6:7], v[68:69]
	v_add_f64 v[5:6], v[78:79], v[50:51]
	v_add_f64 v[7:8], v[80:81], v[52:53]
	v_mul_f64 v[50:51], v[70:71], s[20:21]
	v_mul_f64 v[52:53], v[64:65], s[20:21]
	v_add_f64 v[37:38], v[48:49], v[37:38]
	v_add_f64 v[42:43], v[74:75], v[42:43]
	v_fma_f64 v[48:49], v[58:59], s[6:7], v[66:67]
	v_mul_f64 v[74:75], v[70:71], s[30:31]
	v_add_f64 v[39:40], v[72:73], v[39:40]
	v_fma_f64 v[66:67], v[9:10], s[6:7], -v[68:69]
	v_fma_f64 v[68:69], v[58:59], s[22:23], -v[50:51]
	v_fma_f64 v[72:73], v[9:10], s[22:23], v[52:53]
	v_mul_f64 v[78:79], v[64:65], s[30:31]
	v_fma_f64 v[50:51], v[58:59], s[22:23], v[50:51]
	v_fma_f64 v[52:53], v[9:10], s[22:23], -v[52:53]
	v_add_f64 v[25:26], v[48:49], v[25:26]
	v_fma_f64 v[48:49], v[58:59], s[4:5], -v[74:75]
	v_add_f64 v[27:28], v[66:67], v[27:28]
	v_add_f64 v[29:30], v[68:69], v[29:30]
	;; [unrolled: 1-line block ×3, first 2 shown]
	v_mul_f64 v[68:69], v[70:71], s[18:19]
	v_add_f64 v[33:34], v[50:51], v[33:34]
	v_add_f64 v[35:36], v[52:53], v[35:36]
	v_fma_f64 v[50:51], v[58:59], s[4:5], v[74:75]
	v_fma_f64 v[52:53], v[9:10], s[4:5], -v[78:79]
	v_mul_f64 v[72:73], v[64:65], s[18:19]
	v_fma_f64 v[66:67], v[9:10], s[4:5], v[78:79]
	v_add_f64 v[21:22], v[48:49], v[21:22]
	v_mul_f64 v[48:49], v[70:71], s[2:3]
	v_mul_f64 v[64:65], v[64:65], s[2:3]
	v_add_f64 v[44:45], v[82:83], v[44:45]
	v_add_f64 v[17:18], v[50:51], v[17:18]
	;; [unrolled: 1-line block ×3, first 2 shown]
	v_fma_f64 v[50:51], v[58:59], s[14:15], -v[68:69]
	v_fma_f64 v[52:53], v[9:10], s[14:15], v[72:73]
	v_add_f64 v[23:24], v[66:67], v[23:24]
	v_fma_f64 v[66:67], v[58:59], s[14:15], v[68:69]
	v_fma_f64 v[68:69], v[9:10], s[14:15], -v[72:73]
	v_fma_f64 v[70:71], v[58:59], s[0:1], -v[48:49]
	v_fma_f64 v[72:73], v[9:10], s[0:1], v[64:65]
	v_fma_f64 v[64:65], v[9:10], s[0:1], -v[64:65]
	v_fma_f64 v[58:59], v[58:59], s[0:1], v[48:49]
	v_add_f64 v[13:14], v[50:51], v[13:14]
	v_add_f64 v[15:16], v[52:53], v[15:16]
	v_add_f64 v[48:49], v[66:67], v[54:55]
	v_add_f64 v[50:51], v[68:69], v[56:57]
	v_add_f64 v[9:10], v[70:71], v[11:12]
	v_add_f64 v[11:12], v[72:73], v[60:61]
	v_add_f64 v[54:55], v[64:65], v[46:47]
	v_mul_u32_u24_e32 v46, 0x9c0, v76
	v_lshlrev_b32_e32 v47, 4, v77
	v_add_f64 v[52:53], v[58:59], v[62:63]
	v_add3_u32 v46, 0, v46, v47
	ds_write_b128 v46, v[1:4]
	ds_write_b128 v46, v[5:8] offset:192
	ds_write_b128 v46, v[42:45] offset:384
	;; [unrolled: 1-line block ×12, first 2 shown]
	v_mul_lo_u16_e32 v1, 20, v76
	v_mov_b32_e32 v2, 13
	v_mul_lo_u16_sdwa v1, v1, v2 dst_sel:DWORD dst_unused:UNUSED_PAD src0_sel:BYTE_1 src1_sel:DWORD
	v_sub_u16_e32 v1, v76, v1
	v_and_b32_e32 v114, 0xff, v1
	v_mul_u32_u24_e32 v1, 12, v114
	v_lshlrev_b32_e32 v54, 4, v1
	s_waitcnt lgkmcnt(0)
	s_barrier
	global_load_dwordx4 v[1:4], v54, s[34:35]
	global_load_dwordx4 v[5:8], v54, s[34:35] offset:16
	global_load_dwordx4 v[9:12], v54, s[34:35] offset:32
	;; [unrolled: 1-line block ×10, first 2 shown]
	v_mad_i32_i24 v80, v76, s33, v46
	ds_read_b128 v[46:49], v80 offset:2496
	ds_read_b128 v[50:53], v80 offset:4992
	global_load_dwordx4 v[54:57], v54, s[34:35] offset:160
	ds_read_b128 v[58:61], v80 offset:7488
	v_mov_b32_e32 v115, 4
	v_mov_b32_e32 v116, 0x1000
	s_waitcnt vmcnt(11) lgkmcnt(2)
	v_mul_f64 v[62:63], v[48:49], v[3:4]
	v_mul_f64 v[3:4], v[46:47], v[3:4]
	s_waitcnt vmcnt(10) lgkmcnt(1)
	v_mul_f64 v[64:65], v[52:53], v[7:8]
	v_mul_f64 v[7:8], v[50:51], v[7:8]
	v_fma_f64 v[62:63], v[46:47], v[1:2], -v[62:63]
	v_fma_f64 v[66:67], v[48:49], v[1:2], v[3:4]
	ds_read_b128 v[46:49], v80
	v_fma_f64 v[50:51], v[50:51], v[5:6], -v[64:65]
	v_fma_f64 v[52:53], v[52:53], v[5:6], v[7:8]
	s_waitcnt vmcnt(9) lgkmcnt(1)
	v_mul_f64 v[64:65], v[60:61], v[11:12]
	v_mul_f64 v[11:12], v[58:59], v[11:12]
	ds_read_b128 v[1:4], v80 offset:9984
	ds_read_b128 v[5:8], v80 offset:12480
	s_waitcnt lgkmcnt(2)
	v_add_f64 v[68:69], v[46:47], v[62:63]
	v_add_f64 v[70:71], v[48:49], v[66:67]
	s_waitcnt vmcnt(8) lgkmcnt(1)
	v_mul_f64 v[72:73], v[3:4], v[15:16]
	v_mul_f64 v[15:16], v[1:2], v[15:16]
	v_fma_f64 v[58:59], v[58:59], v[9:10], -v[64:65]
	v_fma_f64 v[60:61], v[60:61], v[9:10], v[11:12]
	v_add_f64 v[64:65], v[68:69], v[50:51]
	v_add_f64 v[9:10], v[70:71], v[52:53]
	v_fma_f64 v[68:69], v[1:2], v[13:14], -v[72:73]
	v_fma_f64 v[70:71], v[3:4], v[13:14], v[15:16]
	s_waitcnt vmcnt(7) lgkmcnt(0)
	v_mul_f64 v[13:14], v[7:8], v[19:20]
	v_mul_f64 v[19:20], v[5:6], v[19:20]
	ds_read_b128 v[1:4], v80 offset:14976
	v_add_f64 v[15:16], v[64:65], v[58:59]
	v_add_f64 v[64:65], v[9:10], v[60:61]
	ds_read_b128 v[9:12], v80 offset:17472
	s_waitcnt vmcnt(6) lgkmcnt(1)
	v_mul_f64 v[72:73], v[3:4], v[23:24]
	v_mul_f64 v[23:24], v[1:2], v[23:24]
	v_fma_f64 v[74:75], v[5:6], v[17:18], -v[13:14]
	v_fma_f64 v[76:77], v[7:8], v[17:18], v[19:20]
	v_add_f64 v[13:14], v[15:16], v[68:69]
	v_add_f64 v[15:16], v[64:65], v[70:71]
	s_waitcnt vmcnt(5) lgkmcnt(0)
	v_mul_f64 v[17:18], v[11:12], v[27:28]
	v_mul_f64 v[19:20], v[9:10], v[27:28]
	v_fma_f64 v[5:6], v[1:2], v[21:22], -v[72:73]
	v_fma_f64 v[7:8], v[3:4], v[21:22], v[23:24]
	ds_read_b128 v[1:4], v80 offset:19968
	v_add_f64 v[21:22], v[13:14], v[74:75]
	v_add_f64 v[23:24], v[15:16], v[76:77]
	ds_read_b128 v[13:16], v80 offset:22464
	v_fma_f64 v[9:10], v[9:10], v[25:26], -v[17:18]
	s_waitcnt vmcnt(4) lgkmcnt(1)
	v_mul_f64 v[64:65], v[3:4], v[31:32]
	v_mul_f64 v[31:32], v[1:2], v[31:32]
	v_fma_f64 v[11:12], v[11:12], v[25:26], v[19:20]
	v_add_f64 v[72:73], v[21:22], v[5:6]
	v_add_f64 v[78:79], v[23:24], v[7:8]
	ds_read_b128 v[17:20], v80 offset:24960
	ds_read_b128 v[21:24], v80 offset:27456
	;; [unrolled: 1-line block ×3, first 2 shown]
	v_fma_f64 v[80:81], v[1:2], v[29:30], -v[64:65]
	v_fma_f64 v[29:30], v[3:4], v[29:30], v[31:32]
	s_waitcnt vmcnt(3) lgkmcnt(3)
	v_mul_f64 v[1:2], v[15:16], v[35:36]
	v_mul_f64 v[3:4], v[13:14], v[35:36]
	v_add_f64 v[31:32], v[72:73], v[9:10]
	v_add_f64 v[35:36], v[78:79], v[11:12]
	s_waitcnt vmcnt(1) lgkmcnt(0)
	v_mul_f64 v[72:73], v[25:26], v[44:45]
	v_mul_f64 v[44:45], v[27:28], v[44:45]
	;; [unrolled: 1-line block ×4, first 2 shown]
	v_fma_f64 v[13:14], v[13:14], v[33:34], -v[1:2]
	v_fma_f64 v[15:16], v[15:16], v[33:34], v[3:4]
	v_add_f64 v[1:2], v[31:32], v[80:81]
	v_add_f64 v[3:4], v[35:36], v[29:30]
	v_fma_f64 v[27:28], v[27:28], v[42:43], v[72:73]
	v_fma_f64 v[25:26], v[25:26], v[42:43], -v[44:45]
	v_fma_f64 v[17:18], v[17:18], v[37:38], -v[64:65]
	v_fma_f64 v[19:20], v[19:20], v[37:38], v[39:40]
	s_waitcnt vmcnt(0)
	v_mul_f64 v[31:32], v[23:24], v[56:57]
	v_mul_f64 v[33:34], v[21:22], v[56:57]
	v_add_f64 v[1:2], v[1:2], v[13:14]
	v_add_f64 v[3:4], v[3:4], v[15:16]
	v_add_f64 v[35:36], v[66:67], -v[27:28]
	v_add_f64 v[37:38], v[62:63], -v[25:26]
	v_fma_f64 v[21:22], v[21:22], v[54:55], -v[31:32]
	v_fma_f64 v[23:24], v[23:24], v[54:55], v[33:34]
	v_add_f64 v[1:2], v[1:2], v[17:18]
	v_add_f64 v[3:4], v[3:4], v[19:20]
	v_add_f64 v[31:32], v[62:63], v[25:26]
	v_add_f64 v[33:34], v[66:67], v[27:28]
	v_mul_f64 v[39:40], v[35:36], s[42:43]
	v_mul_f64 v[42:43], v[37:38], s[42:43]
	;; [unrolled: 1-line block ×4, first 2 shown]
	v_add_f64 v[1:2], v[1:2], v[21:22]
	v_add_f64 v[44:45], v[3:4], v[23:24]
	v_add_f64 v[98:99], v[52:53], -v[23:24]
	v_add_f64 v[100:101], v[50:51], -v[21:22]
	v_fma_f64 v[54:55], v[31:32], s[6:7], -v[39:40]
	v_fma_f64 v[56:57], v[33:34], s[6:7], v[42:43]
	v_mul_f64 v[62:63], v[37:38], s[38:39]
	v_mul_f64 v[82:83], v[35:36], s[18:19]
	v_add_f64 v[3:4], v[1:2], v[25:26]
	v_add_f64 v[1:2], v[44:45], v[27:28]
	v_mul_f64 v[25:26], v[35:36], s[36:37]
	v_mul_f64 v[27:28], v[37:38], s[36:37]
	v_add_f64 v[44:45], v[46:47], v[54:55]
	v_add_f64 v[54:55], v[48:49], v[56:57]
	v_mul_f64 v[56:57], v[35:36], s[38:39]
	v_mul_f64 v[84:85], v[37:38], s[18:19]
	v_fma_f64 v[94:95], v[31:32], s[22:23], -v[86:87]
	v_fma_f64 v[96:97], v[33:34], s[22:23], v[88:89]
	v_mul_f64 v[35:36], v[35:36], s[28:29]
	v_mul_f64 v[37:38], v[37:38], s[28:29]
	v_fma_f64 v[86:87], v[31:32], s[22:23], v[86:87]
	v_fma_f64 v[88:89], v[33:34], s[22:23], -v[88:89]
	v_add_f64 v[21:22], v[50:51], v[21:22]
	v_add_f64 v[23:24], v[52:53], v[23:24]
	v_mul_f64 v[50:51], v[98:99], s[36:37]
	v_mul_f64 v[52:53], v[100:101], s[36:37]
	v_fma_f64 v[39:40], v[31:32], s[6:7], v[39:40]
	v_fma_f64 v[42:43], v[33:34], s[6:7], -v[42:43]
	v_fma_f64 v[64:65], v[31:32], s[4:5], -v[25:26]
	v_fma_f64 v[66:67], v[33:34], s[4:5], v[27:28]
	v_fma_f64 v[25:26], v[31:32], s[4:5], v[25:26]
	v_fma_f64 v[27:28], v[33:34], s[4:5], -v[27:28]
	v_fma_f64 v[72:73], v[31:32], s[0:1], -v[56:57]
	v_fma_f64 v[78:79], v[33:34], s[0:1], v[62:63]
	;; [unrolled: 4-line block ×4, first 2 shown]
	v_fma_f64 v[31:32], v[31:32], s[24:25], v[35:36]
	v_fma_f64 v[33:34], v[33:34], s[24:25], -v[37:38]
	v_add_f64 v[35:36], v[46:47], v[86:87]
	v_add_f64 v[37:38], v[48:49], v[88:89]
	v_fma_f64 v[86:87], v[21:22], s[4:5], -v[50:51]
	v_fma_f64 v[88:89], v[23:24], s[4:5], v[52:53]
	v_add_f64 v[39:40], v[46:47], v[39:40]
	v_add_f64 v[42:43], v[48:49], v[42:43]
	;; [unrolled: 1-line block ×20, first 2 shown]
	v_mul_f64 v[46:47], v[98:99], s[18:19]
	v_mul_f64 v[48:49], v[100:101], s[18:19]
	v_add_f64 v[44:45], v[86:87], v[44:45]
	v_add_f64 v[54:55], v[88:89], v[54:55]
	v_fma_f64 v[50:51], v[21:22], s[4:5], v[50:51]
	v_fma_f64 v[52:53], v[23:24], s[4:5], -v[52:53]
	v_mul_f64 v[86:87], v[98:99], s[28:29]
	v_mul_f64 v[88:89], v[100:101], s[28:29]
	v_fma_f64 v[106:107], v[21:22], s[14:15], -v[46:47]
	v_fma_f64 v[108:109], v[23:24], s[14:15], v[48:49]
	v_fma_f64 v[46:47], v[21:22], s[14:15], v[46:47]
	v_fma_f64 v[48:49], v[23:24], s[14:15], -v[48:49]
	v_add_f64 v[39:40], v[50:51], v[39:40]
	v_add_f64 v[42:43], v[52:53], v[42:43]
	v_fma_f64 v[50:51], v[21:22], s[24:25], -v[86:87]
	v_fma_f64 v[52:53], v[23:24], s[24:25], v[88:89]
	v_add_f64 v[64:65], v[106:107], v[64:65]
	v_add_f64 v[66:67], v[108:109], v[66:67]
	;; [unrolled: 1-line block ×4, first 2 shown]
	v_mul_f64 v[46:47], v[98:99], s[40:41]
	v_mul_f64 v[48:49], v[100:101], s[40:41]
	v_add_f64 v[50:51], v[50:51], v[72:73]
	v_add_f64 v[52:53], v[52:53], v[78:79]
	v_fma_f64 v[72:73], v[21:22], s[24:25], v[86:87]
	v_mul_f64 v[78:79], v[98:99], s[2:3]
	v_fma_f64 v[86:87], v[23:24], s[24:25], -v[88:89]
	v_mul_f64 v[88:89], v[100:101], s[2:3]
	v_fma_f64 v[106:107], v[21:22], s[22:23], -v[46:47]
	v_fma_f64 v[108:109], v[23:24], s[22:23], v[48:49]
	v_fma_f64 v[46:47], v[21:22], s[22:23], v[46:47]
	v_fma_f64 v[48:49], v[23:24], s[22:23], -v[48:49]
	v_add_f64 v[56:57], v[72:73], v[56:57]
	v_fma_f64 v[72:73], v[21:22], s[0:1], -v[78:79]
	v_add_f64 v[62:63], v[86:87], v[62:63]
	v_fma_f64 v[86:87], v[23:24], s[0:1], v[88:89]
	v_fma_f64 v[78:79], v[21:22], s[0:1], v[78:79]
	v_fma_f64 v[88:89], v[23:24], s[0:1], -v[88:89]
	v_add_f64 v[46:47], v[46:47], v[82:83]
	v_add_f64 v[48:49], v[48:49], v[84:85]
	v_mul_f64 v[82:83], v[98:99], s[26:27]
	v_add_f64 v[72:73], v[72:73], v[94:95]
	v_add_f64 v[84:85], v[60:61], -v[19:20]
	v_add_f64 v[94:95], v[58:59], -v[17:18]
	v_add_f64 v[17:18], v[58:59], v[17:18]
	v_add_f64 v[19:20], v[60:61], v[19:20]
	v_add_f64 v[86:87], v[86:87], v[96:97]
	v_mul_f64 v[96:97], v[100:101], s[26:27]
	v_fma_f64 v[98:99], v[21:22], s[6:7], -v[82:83]
	v_fma_f64 v[21:22], v[21:22], s[6:7], v[82:83]
	v_mul_f64 v[58:59], v[84:85], s[38:39]
	v_mul_f64 v[60:61], v[94:95], s[38:39]
	v_add_f64 v[35:36], v[78:79], v[35:36]
	v_add_f64 v[37:38], v[88:89], v[37:38]
	;; [unrolled: 1-line block ×3, first 2 shown]
	v_fma_f64 v[100:101], v[23:24], s[6:7], v[96:97]
	v_fma_f64 v[23:24], v[23:24], s[6:7], -v[96:97]
	v_add_f64 v[21:22], v[21:22], v[31:32]
	v_fma_f64 v[78:79], v[17:18], s[0:1], -v[58:59]
	v_fma_f64 v[88:89], v[19:20], s[0:1], v[60:61]
	v_mul_f64 v[31:32], v[84:85], s[28:29]
	v_add_f64 v[82:83], v[98:99], v[102:103]
	v_fma_f64 v[58:59], v[17:18], s[0:1], v[58:59]
	v_fma_f64 v[60:61], v[19:20], s[0:1], -v[60:61]
	v_add_f64 v[23:24], v[23:24], v[33:34]
	v_mul_f64 v[33:34], v[94:95], s[28:29]
	v_add_f64 v[44:45], v[78:79], v[44:45]
	v_add_f64 v[54:55], v[88:89], v[54:55]
	v_mul_f64 v[78:79], v[84:85], s[44:45]
	v_mul_f64 v[88:89], v[94:95], s[44:45]
	v_fma_f64 v[98:99], v[17:18], s[24:25], -v[31:32]
	v_fma_f64 v[31:32], v[17:18], s[24:25], v[31:32]
	v_add_f64 v[39:40], v[58:59], v[39:40]
	v_add_f64 v[42:43], v[60:61], v[42:43]
	;; [unrolled: 1-line block ×3, first 2 shown]
	v_fma_f64 v[100:101], v[19:20], s[24:25], v[33:34]
	v_fma_f64 v[58:59], v[17:18], s[14:15], -v[78:79]
	v_fma_f64 v[60:61], v[19:20], s[14:15], v[88:89]
	v_fma_f64 v[33:34], v[19:20], s[24:25], -v[33:34]
	v_add_f64 v[25:26], v[31:32], v[25:26]
	v_mul_f64 v[31:32], v[84:85], s[26:27]
	v_add_f64 v[64:65], v[98:99], v[64:65]
	v_mul_f64 v[98:99], v[94:95], s[36:37]
	v_add_f64 v[66:67], v[100:101], v[66:67]
	v_add_f64 v[50:51], v[58:59], v[50:51]
	;; [unrolled: 1-line block ×3, first 2 shown]
	v_fma_f64 v[58:59], v[17:18], s[14:15], v[78:79]
	v_fma_f64 v[60:61], v[19:20], s[14:15], -v[88:89]
	v_mul_f64 v[78:79], v[84:85], s[36:37]
	v_fma_f64 v[88:89], v[17:18], s[6:7], -v[31:32]
	v_add_f64 v[27:28], v[33:34], v[27:28]
	v_mul_f64 v[33:34], v[94:95], s[26:27]
	v_fma_f64 v[31:32], v[17:18], s[6:7], v[31:32]
	v_add_f64 v[92:93], v[108:109], v[92:93]
	v_add_f64 v[56:57], v[58:59], v[56:57]
	;; [unrolled: 1-line block ×3, first 2 shown]
	v_fma_f64 v[60:61], v[17:18], s[4:5], -v[78:79]
	v_add_f64 v[62:63], v[88:89], v[90:91]
	v_fma_f64 v[88:89], v[19:20], s[4:5], v[98:99]
	v_fma_f64 v[100:101], v[19:20], s[6:7], v[33:34]
	v_fma_f64 v[33:34], v[19:20], s[6:7], -v[33:34]
	v_add_f64 v[31:32], v[31:32], v[46:47]
	v_mul_f64 v[46:47], v[84:85], s[20:21]
	v_fma_f64 v[78:79], v[17:18], s[4:5], v[78:79]
	v_add_f64 v[60:61], v[60:61], v[72:73]
	v_add_f64 v[72:73], v[70:71], -v[15:16]
	v_add_f64 v[84:85], v[88:89], v[86:87]
	v_add_f64 v[86:87], v[68:69], -v[13:14]
	v_add_f64 v[33:34], v[33:34], v[48:49]
	v_mul_f64 v[48:49], v[94:95], s[20:21]
	v_add_f64 v[13:14], v[68:69], v[13:14]
	v_add_f64 v[15:16], v[70:71], v[15:16]
	;; [unrolled: 1-line block ×3, first 2 shown]
	v_mul_f64 v[68:69], v[72:73], s[18:19]
	v_fma_f64 v[88:89], v[19:20], s[4:5], -v[98:99]
	v_mul_f64 v[70:71], v[86:87], s[18:19]
	v_fma_f64 v[92:93], v[17:18], s[22:23], -v[46:47]
	v_fma_f64 v[94:95], v[19:20], s[22:23], v[48:49]
	v_fma_f64 v[17:18], v[17:18], s[22:23], v[46:47]
	v_fma_f64 v[19:20], v[19:20], s[22:23], -v[48:49]
	v_add_f64 v[35:36], v[78:79], v[35:36]
	v_fma_f64 v[46:47], v[13:14], s[14:15], -v[68:69]
	v_add_f64 v[37:38], v[88:89], v[37:38]
	v_fma_f64 v[48:49], v[15:16], s[14:15], v[70:71]
	v_add_f64 v[78:79], v[92:93], v[82:83]
	v_fma_f64 v[68:69], v[13:14], s[14:15], v[68:69]
	v_add_f64 v[17:18], v[17:18], v[21:22]
	v_add_f64 v[19:20], v[19:20], v[23:24]
	v_mul_f64 v[21:22], v[72:73], s[40:41]
	v_mul_f64 v[23:24], v[86:87], s[40:41]
	v_add_f64 v[88:89], v[46:47], v[44:45]
	v_fma_f64 v[44:45], v[15:16], s[14:15], -v[70:71]
	v_add_f64 v[92:93], v[48:49], v[54:55]
	v_mul_f64 v[46:47], v[72:73], s[26:27]
	v_mul_f64 v[48:49], v[86:87], s[26:27]
	v_add_f64 v[82:83], v[94:95], v[96:97]
	v_fma_f64 v[54:55], v[13:14], s[22:23], -v[21:22]
	v_fma_f64 v[70:71], v[15:16], s[22:23], v[23:24]
	v_add_f64 v[94:95], v[68:69], v[39:40]
	v_fma_f64 v[21:22], v[13:14], s[22:23], v[21:22]
	v_add_f64 v[96:97], v[44:45], v[42:43]
	v_fma_f64 v[23:24], v[15:16], s[22:23], -v[23:24]
	v_fma_f64 v[39:40], v[13:14], s[6:7], -v[46:47]
	v_fma_f64 v[42:43], v[15:16], s[6:7], v[48:49]
	v_mul_f64 v[44:45], v[72:73], s[38:39]
	v_add_f64 v[98:99], v[54:55], v[64:65]
	v_add_f64 v[100:101], v[70:71], v[66:67]
	;; [unrolled: 1-line block ×3, first 2 shown]
	v_mul_f64 v[25:26], v[86:87], s[38:39]
	v_add_f64 v[23:24], v[23:24], v[27:28]
	v_add_f64 v[27:28], v[39:40], v[50:51]
	v_add_f64 v[102:103], v[42:43], v[52:53]
	v_fma_f64 v[39:40], v[13:14], s[6:7], v[46:47]
	v_fma_f64 v[42:43], v[15:16], s[6:7], -v[48:49]
	v_mul_f64 v[48:49], v[72:73], s[46:47]
	v_fma_f64 v[46:47], v[13:14], s[0:1], -v[44:45]
	v_fma_f64 v[50:51], v[15:16], s[0:1], v[25:26]
	v_fma_f64 v[44:45], v[13:14], s[0:1], v[44:45]
	v_mul_f64 v[52:53], v[86:87], s[46:47]
	v_fma_f64 v[25:26], v[15:16], s[0:1], -v[25:26]
	v_add_f64 v[104:105], v[39:40], v[56:57]
	v_add_f64 v[106:107], v[42:43], v[58:59]
	v_fma_f64 v[39:40], v[13:14], s[24:25], -v[48:49]
	v_add_f64 v[108:109], v[46:47], v[62:63]
	v_fma_f64 v[42:43], v[13:14], s[24:25], v[48:49]
	v_add_f64 v[44:45], v[44:45], v[31:32]
	v_fma_f64 v[31:32], v[15:16], s[24:25], v[52:53]
	v_add_f64 v[46:47], v[25:26], v[33:34]
	v_mul_f64 v[25:26], v[72:73], s[30:31]
	v_add_f64 v[90:91], v[50:51], v[90:91]
	v_add_f64 v[48:49], v[39:40], v[60:61]
	v_add_f64 v[61:62], v[76:77], -v[29:30]
	v_add_f64 v[65:66], v[74:75], -v[80:81]
	v_add_f64 v[63:64], v[42:43], v[35:36]
	v_add_f64 v[57:58], v[31:32], v[84:85]
	;; [unrolled: 1-line block ×3, first 2 shown]
	v_fma_f64 v[31:32], v[13:14], s[4:5], -v[25:26]
	v_mul_f64 v[33:34], v[86:87], s[30:31]
	v_fma_f64 v[39:40], v[15:16], s[24:25], -v[52:53]
	v_mul_f64 v[35:36], v[61:62], s[20:21]
	v_add_f64 v[59:60], v[76:77], v[29:30]
	v_mul_f64 v[29:30], v[65:66], s[20:21]
	v_fma_f64 v[13:14], v[13:14], s[4:5], v[25:26]
	v_mul_f64 v[71:72], v[65:66], s[2:3]
	v_add_f64 v[53:54], v[31:32], v[78:79]
	v_mul_f64 v[31:32], v[61:62], s[2:3]
	v_fma_f64 v[55:56], v[15:16], s[4:5], v[33:34]
	v_fma_f64 v[25:26], v[50:51], s[22:23], -v[35:36]
	v_add_f64 v[67:68], v[39:40], v[37:38]
	v_fma_f64 v[15:16], v[15:16], s[4:5], -v[33:34]
	v_fma_f64 v[33:34], v[59:60], s[22:23], v[29:30]
	v_fma_f64 v[29:30], v[59:60], s[22:23], -v[29:30]
	v_add_f64 v[69:70], v[13:14], v[17:18]
	v_mul_f64 v[17:18], v[61:62], s[36:37]
	v_mul_f64 v[75:76], v[65:66], s[46:47]
	v_add_f64 v[37:38], v[25:26], v[88:89]
	v_fma_f64 v[25:26], v[50:51], s[0:1], v[31:32]
	v_mul_f64 v[73:74], v[61:62], s[46:47]
	v_add_f64 v[55:56], v[55:56], v[82:83]
	v_add_f64 v[42:43], v[15:16], v[19:20]
	v_fma_f64 v[13:14], v[50:51], s[0:1], -v[31:32]
	v_fma_f64 v[15:16], v[59:60], s[0:1], v[71:72]
	v_add_f64 v[39:40], v[33:34], v[92:93]
	v_add_f64 v[33:34], v[29:30], v[96:97]
	v_fma_f64 v[31:32], v[59:60], s[0:1], -v[71:72]
	v_fma_f64 v[71:72], v[50:51], s[4:5], -v[17:18]
	v_add_f64 v[29:30], v[25:26], v[21:22]
	v_fma_f64 v[21:22], v[50:51], s[4:5], v[17:18]
	v_fma_f64 v[81:82], v[59:60], s[24:25], v[75:76]
	v_mul_lo_u32 v52, v41, v114
	v_mul_f64 v[19:20], v[65:66], s[36:37]
	v_fma_f64 v[79:80], v[50:51], s[24:25], -v[73:74]
	v_add_f64 v[31:32], v[31:32], v[23:24]
	v_add_f64 v[17:18], v[71:72], v[27:28]
	v_mul_f64 v[71:72], v[61:62], s[26:27]
	v_add_f64 v[27:28], v[21:22], v[104:105]
	v_add_f64 v[21:22], v[81:82], v[90:91]
	v_lshlrev_b32_sdwa v81, v115, v52 dst_sel:DWORD dst_unused:UNUSED_PAD src0_sel:DWORD src1_sel:BYTE_0
	v_bfe_u32 v52, v52, 8, 8
	v_lshl_or_b32 v52, v52, 4, v116
	global_load_dwordx4 v[81:84], v81, s[16:17]
	s_nop 0
	global_load_dwordx4 v[85:88], v52, s[16:17]
	v_fma_f64 v[77:78], v[59:60], s[4:5], v[19:20]
	v_add_f64 v[23:24], v[79:80], v[108:109]
	v_mul_f64 v[79:80], v[65:66], s[26:27]
	v_fma_f64 v[35:36], v[50:51], s[22:23], v[35:36]
	v_fma_f64 v[73:74], v[50:51], s[24:25], v[73:74]
	v_fma_f64 v[75:76], v[59:60], s[24:25], -v[75:76]
	v_add_f64 v[13:14], v[13:14], v[98:99]
	v_add_f64 v[15:16], v[15:16], v[100:101]
	v_fma_f64 v[25:26], v[59:60], s[4:5], -v[19:20]
	v_add_f64 v[19:20], v[77:78], v[102:103]
	v_fma_f64 v[77:78], v[50:51], s[6:7], -v[71:72]
	v_fma_f64 v[89:90], v[59:60], s[6:7], v[79:80]
	v_fma_f64 v[71:72], v[50:51], s[6:7], v[71:72]
	v_mul_f64 v[61:62], v[61:62], s[18:19]
	v_mul_f64 v[65:66], v[65:66], s[18:19]
	v_add_f64 v[99:100], v[7:8], -v[11:12]
	v_add_f64 v[35:36], v[35:36], v[94:95]
	v_add_f64 v[91:92], v[73:74], v[44:45]
	;; [unrolled: 1-line block ×3, first 2 shown]
	v_add_f64 v[45:46], v[5:6], -v[9:10]
	v_fma_f64 v[79:80], v[59:60], s[6:7], -v[79:80]
	v_add_f64 v[95:96], v[77:78], v[48:49]
	v_add_f64 v[89:90], v[89:90], v[57:58]
	;; [unrolled: 1-line block ×3, first 2 shown]
	v_fma_f64 v[57:58], v[50:51], s[14:15], -v[61:62]
	v_fma_f64 v[63:64], v[59:60], s[14:15], v[65:66]
	v_fma_f64 v[49:50], v[50:51], s[14:15], v[61:62]
	v_fma_f64 v[59:60], v[59:60], s[14:15], -v[65:66]
	v_add_f64 v[51:52], v[5:6], v[9:10]
	v_mul_f64 v[61:62], v[99:100], s[28:29]
	v_add_f64 v[47:48], v[7:8], v[11:12]
	v_mul_f64 v[65:66], v[45:46], s[28:29]
	v_add_u32_e32 v5, 13, v114
	v_mul_lo_u32 v5, v41, v5
	v_add_f64 v[109:110], v[57:58], v[53:54]
	v_add_f64 v[77:78], v[59:60], v[42:43]
	;; [unrolled: 1-line block ×3, first 2 shown]
	v_fma_f64 v[42:43], v[51:52], s[24:25], -v[61:62]
	v_lshlrev_b32_sdwa v44, v115, v5 dst_sel:DWORD dst_unused:UNUSED_PAD src0_sel:DWORD src1_sel:BYTE_0
	v_bfe_u32 v5, v5, 8, 8
	v_fma_f64 v[53:54], v[47:48], s[24:25], v[65:66]
	v_lshl_or_b32 v55, v5, 4, v116
	global_load_dwordx4 v[5:8], v44, s[16:17]
	global_load_dwordx4 v[9:12], v55, s[16:17]
	v_add_u32_e32 v44, 26, v114
	v_mul_lo_u32 v44, v41, v44
	v_add_f64 v[111:112], v[42:43], v[37:38]
	v_add_u32_e32 v38, 39, v114
	v_add_f64 v[25:26], v[25:26], v[106:107]
	v_lshlrev_b32_sdwa v57, v115, v44 dst_sel:DWORD dst_unused:UNUSED_PAD src0_sel:DWORD src1_sel:BYTE_0
	v_bfe_u32 v37, v44, 8, 8
	v_mul_lo_u32 v44, v41, v38
	v_add_f64 v[125:126], v[53:54], v[39:40]
	v_lshl_or_b32 v58, v37, 4, v116
	global_load_dwordx4 v[37:40], v57, s[16:17]
	global_load_dwordx4 v[53:56], v58, s[16:17]
	v_add_f64 v[107:108], v[79:80], v[67:68]
	v_fma_f64 v[42:43], v[51:52], s[24:25], v[61:62]
	v_lshlrev_b32_sdwa v67, v115, v44 dst_sel:DWORD dst_unused:UNUSED_PAD src0_sel:DWORD src1_sel:BYTE_0
	v_bfe_u32 v44, v44, 8, 8
	v_lshl_or_b32 v44, v44, 4, v116
	global_load_dwordx4 v[57:60], v67, s[16:17]
	global_load_dwordx4 v[61:64], v44, s[16:17]
	v_add_f64 v[49:50], v[49:50], v[69:70]
	v_mul_f64 v[73:74], v[45:46], s[26:27]
	v_add_f64 v[69:70], v[42:43], v[35:36]
	v_add_u32_e32 v35, 52, v114
	v_mul_lo_u32 v44, v41, v35
	v_fma_f64 v[35:36], v[47:48], s[24:25], -v[65:66]
	v_mul_f64 v[42:43], v[99:100], s[26:27]
	v_lshlrev_b32_sdwa v71, v115, v44 dst_sel:DWORD dst_unused:UNUSED_PAD src0_sel:DWORD src1_sel:BYTE_0
	v_bfe_u32 v44, v44, 8, 8
	v_lshl_or_b32 v44, v44, 4, v116
	global_load_dwordx4 v[65:68], v71, s[16:17]
	global_load_dwordx4 v[103:106], v44, s[16:17]
	v_add_f64 v[71:72], v[35:36], v[33:34]
	v_add_u32_e32 v35, 0x41, v114
	v_mul_lo_u32 v44, v41, v35
	v_fma_f64 v[33:34], v[51:52], s[6:7], -v[42:43]
	v_fma_f64 v[35:36], v[47:48], s[6:7], v[73:74]
	v_fma_f64 v[42:43], v[51:52], s[6:7], v[42:43]
	v_lshlrev_b32_sdwa v79, v115, v44 dst_sel:DWORD dst_unused:UNUSED_PAD src0_sel:DWORD src1_sel:BYTE_0
	v_bfe_u32 v44, v44, 8, 8
	v_lshl_or_b32 v44, v44, 4, v116
	global_load_dwordx4 v[117:120], v79, s[16:17]
	global_load_dwordx4 v[121:124], v44, s[16:17]
	v_fma_f64 v[73:74], v[47:48], s[6:7], -v[73:74]
	v_add_f64 v[33:34], v[33:34], v[13:14]
	v_add_f64 v[35:36], v[35:36], v[15:16]
	;; [unrolled: 1-line block ×3, first 2 shown]
	s_waitcnt vmcnt(10)
	v_mul_f64 v[13:14], v[83:84], v[87:88]
	v_mul_f64 v[15:16], v[81:82], v[87:88]
	;; [unrolled: 1-line block ×4, first 2 shown]
	v_add_f64 v[73:74], v[73:74], v[31:32]
	v_mul_f64 v[31:32], v[45:46], s[20:21]
	v_fma_f64 v[127:128], v[81:82], v[85:86], -v[13:14]
	v_fma_f64 v[13:14], v[83:84], v[85:86], v[15:16]
	v_fma_f64 v[15:16], v[51:52], s[22:23], -v[29:30]
	v_mul_f64 v[85:86], v[99:100], s[30:31]
	v_fma_f64 v[29:30], v[51:52], s[22:23], v[29:30]
	v_fma_f64 v[42:43], v[47:48], s[22:23], v[31:32]
	v_fma_f64 v[31:32], v[47:48], s[22:23], -v[31:32]
	v_add_f64 v[17:18], v[15:16], v[17:18]
	v_fma_f64 v[15:16], v[51:52], s[4:5], -v[85:86]
	v_add_f64 v[81:82], v[29:30], v[27:28]
	v_add_f64 v[19:20], v[42:43], v[19:20]
	;; [unrolled: 1-line block ×3, first 2 shown]
	v_fma_f64 v[25:26], v[47:48], s[4:5], v[87:88]
	v_mul_f64 v[27:28], v[99:100], s[18:19]
	v_mul_f64 v[29:30], v[45:46], s[18:19]
	;; [unrolled: 1-line block ×3, first 2 shown]
	v_add_f64 v[42:43], v[15:16], v[23:24]
	v_fma_f64 v[15:16], v[47:48], s[4:5], -v[87:88]
	v_fma_f64 v[31:32], v[51:52], s[4:5], v[85:86]
	v_mul_f64 v[45:46], v[45:46], s[2:3]
	v_add_f64 v[101:102], v[25:26], v[21:22]
	v_fma_f64 v[21:22], v[51:52], s[14:15], -v[27:28]
	v_fma_f64 v[23:24], v[47:48], s[14:15], v[29:30]
	v_fma_f64 v[25:26], v[51:52], s[14:15], v[27:28]
	s_waitcnt vmcnt(8)
	v_mul_f64 v[27:28], v[5:6], v[11:12]
	v_add_f64 v[87:88], v[15:16], v[93:94]
	v_fma_f64 v[15:16], v[47:48], s[14:15], -v[29:30]
	v_mul_f64 v[11:12], v[7:8], v[11:12]
	v_add_f64 v[85:86], v[31:32], v[91:92]
	v_add_f64 v[95:96], v[21:22], v[95:96]
	;; [unrolled: 1-line block ×3, first 2 shown]
	v_fma_f64 v[21:22], v[51:52], s[0:1], -v[99:100]
	v_fma_f64 v[7:8], v[7:8], v[9:10], v[27:28]
	v_mul_f64 v[23:24], v[1:2], v[13:14]
	v_add_f64 v[89:90], v[15:16], v[107:108]
	s_waitcnt vmcnt(6)
	v_mul_f64 v[15:16], v[37:38], v[55:56]
	v_add_f64 v[91:92], v[25:26], v[97:98]
	v_mul_f64 v[25:26], v[3:4], v[13:14]
	v_fma_f64 v[5:6], v[5:6], v[9:10], -v[11:12]
	v_add_f64 v[97:98], v[21:22], v[109:110]
	s_waitcnt vmcnt(4)
	v_mul_f64 v[9:10], v[57:58], v[63:64]
	v_mul_f64 v[11:12], v[7:8], v[125:126]
	v_fma_f64 v[13:14], v[3:4], v[127:128], -v[23:24]
	v_mul_f64 v[3:4], v[39:40], v[55:56]
	v_fma_f64 v[21:22], v[39:40], v[53:54], v[15:16]
	v_fma_f64 v[15:16], v[1:2], v[127:128], v[25:26]
	v_mul_f64 v[1:2], v[59:60], v[63:64]
	v_mul_f64 v[7:8], v[7:8], v[111:112]
	v_fma_f64 v[23:24], v[59:60], v[61:62], v[9:10]
	v_fma_f64 v[9:10], v[5:6], v[111:112], -v[11:12]
	v_fma_f64 v[51:52], v[51:52], s[0:1], v[99:100]
	v_fma_f64 v[3:4], v[37:38], v[53:54], -v[3:4]
	v_mul_f64 v[25:26], v[35:36], v[21:22]
	s_waitcnt vmcnt(2)
	v_mul_f64 v[11:12], v[65:66], v[105:106]
	v_mul_f64 v[21:22], v[33:34], v[21:22]
	v_fma_f64 v[27:28], v[57:58], v[61:62], -v[1:2]
	v_mul_f64 v[1:2], v[19:20], v[23:24]
	v_mul_f64 v[23:24], v[17:18], v[23:24]
	;; [unrolled: 1-line block ×3, first 2 shown]
	v_fma_f64 v[99:100], v[47:48], s[0:1], v[45:46]
	v_fma_f64 v[45:46], v[47:48], s[0:1], -v[45:46]
	v_fma_f64 v[31:32], v[67:68], v[103:104], v[11:12]
	v_fma_f64 v[11:12], v[5:6], v[125:126], v[7:8]
	;; [unrolled: 1-line block ×3, first 2 shown]
	s_waitcnt vmcnt(0)
	v_mul_f64 v[21:22], v[119:120], v[123:124]
	v_fma_f64 v[1:2], v[17:18], v[27:28], -v[1:2]
	v_add_u32_e32 v17, 0x4e, v114
	v_mul_lo_u32 v17, v41, v17
	v_add_u32_e32 v18, 0x5b, v114
	v_fma_f64 v[5:6], v[33:34], v[3:4], -v[25:26]
	v_mul_lo_u32 v26, v41, v18
	v_lshlrev_b32_sdwa v25, v115, v17 dst_sel:DWORD dst_unused:UNUSED_PAD src0_sel:DWORD src1_sel:BYTE_0
	v_bfe_u32 v17, v17, 8, 8
	v_fma_f64 v[3:4], v[19:20], v[27:28], v[23:24]
	v_fma_f64 v[105:106], v[65:66], v[103:104], -v[29:30]
	v_fma_f64 v[103:104], v[117:118], v[121:122], -v[21:22]
	v_lshl_or_b32 v27, v17, 4, v116
	global_load_dwordx4 v[17:20], v25, s[16:17]
	global_load_dwordx4 v[21:24], v27, s[16:17]
	v_lshlrev_b32_sdwa v33, v115, v26 dst_sel:DWORD dst_unused:UNUSED_PAD src0_sel:DWORD src1_sel:BYTE_0
	v_bfe_u32 v25, v26, 8, 8
	v_add_u32_e32 v26, 0x68, v114
	v_mul_f64 v[107:108], v[101:102], v[31:32]
	v_mul_f64 v[109:110], v[42:43], v[31:32]
	v_mul_lo_u32 v34, v41, v26
	v_lshl_or_b32 v35, v25, 4, v116
	global_load_dwordx4 v[25:28], v33, s[16:17]
	global_load_dwordx4 v[29:32], v35, s[16:17]
	v_mul_f64 v[53:54], v[117:118], v[123:124]
	v_bfe_u32 v33, v34, 8, 8
	v_lshl_or_b32 v55, v33, 4, v116
	v_add_u32_e32 v33, 0x75, v114
	v_mul_lo_u32 v56, v41, v33
	v_lshlrev_b32_sdwa v44, v115, v34 dst_sel:DWORD dst_unused:UNUSED_PAD src0_sel:DWORD src1_sel:BYTE_0
	global_load_dwordx4 v[33:36], v44, s[16:17]
	global_load_dwordx4 v[37:40], v55, s[16:17]
	v_add_f64 v[75:76], v[99:100], v[75:76]
	v_fma_f64 v[111:112], v[119:120], v[121:122], v[53:54]
	v_bfe_u32 v53, v56, 8, 8
	v_lshlrev_b32_sdwa v44, v115, v56 dst_sel:DWORD dst_unused:UNUSED_PAD src0_sel:DWORD src1_sel:BYTE_0
	v_add_u32_e32 v54, 0x82, v114
	v_lshl_or_b32 v62, v53, 4, v116
	v_mul_lo_u32 v61, v41, v54
	global_load_dwordx4 v[53:56], v44, s[16:17]
	global_load_dwordx4 v[57:60], v62, s[16:17]
	v_add_u32_e32 v62, 0x8f, v114
	v_mul_lo_u32 v117, v41, v62
	v_lshlrev_b32_sdwa v44, v115, v61 dst_sel:DWORD dst_unused:UNUSED_PAD src0_sel:DWORD src1_sel:BYTE_0
	v_bfe_u32 v61, v61, 8, 8
	v_lshl_or_b32 v118, v61, 4, v116
	global_load_dwordx4 v[61:64], v44, s[16:17]
	global_load_dwordx4 v[65:68], v118, s[16:17]
	v_lshlrev_b32_sdwa v44, v115, v117 dst_sel:DWORD dst_unused:UNUSED_PAD src0_sel:DWORD src1_sel:BYTE_0
	v_bfe_u32 v117, v117, 8, 8
	v_lshl_or_b32 v125, v117, 4, v116
	v_add_u32_e32 v117, 0x9c, v114
	v_mul_lo_u32 v126, v41, v117
	global_load_dwordx4 v[117:120], v44, s[16:17]
	global_load_dwordx4 v[121:124], v125, s[16:17]
	v_fma_f64 v[41:42], v[42:43], v[105:106], -v[107:108]
	v_fma_f64 v[43:44], v[101:102], v[105:106], v[109:110]
	v_lshlrev_b32_sdwa v101, v115, v126 dst_sel:DWORD dst_unused:UNUSED_PAD src0_sel:DWORD src1_sel:BYTE_0
	v_bfe_u32 v102, v126, 8, 8
	v_lshl_or_b32 v102, v102, 4, v116
	global_load_dwordx4 v[105:108], v101, s[16:17]
	global_load_dwordx4 v[125:128], v102, s[16:17]
	v_add_f64 v[99:100], v[51:52], v[49:50]
	v_add_f64 v[77:78], v[45:46], v[77:78]
	v_mul_f64 v[45:46], v[93:94], v[111:112]
	s_movk_i32 s0, 0xa9
	v_mul_lo_u16_sdwa v0, v0, s0 dst_sel:DWORD dst_unused:UNUSED_PAD src0_sel:WORD_1 src1_sel:DWORD
	v_add_u32_e32 v0, v114, v0
	s_waitcnt vmcnt(12)
	v_mul_f64 v[47:48], v[17:18], v[23:24]
	v_mul_f64 v[23:24], v[19:20], v[23:24]
	s_waitcnt vmcnt(10)
	v_mul_f64 v[49:50], v[25:26], v[31:32]
	v_fma_f64 v[19:20], v[19:20], v[21:22], v[47:48]
	v_fma_f64 v[17:18], v[17:18], v[21:22], -v[23:24]
	v_mul_f64 v[23:24], v[27:28], v[31:32]
	v_mul_f64 v[31:32], v[95:96], v[111:112]
	s_waitcnt vmcnt(8)
	v_mul_f64 v[21:22], v[33:34], v[39:40]
	v_fma_f64 v[27:28], v[27:28], v[29:30], v[49:50]
	v_mul_f64 v[47:48], v[75:76], v[19:20]
	v_mul_f64 v[19:20], v[97:98], v[19:20]
	;; [unrolled: 1-line block ×3, first 2 shown]
	v_fma_f64 v[23:24], v[25:26], v[29:30], -v[23:24]
	v_fma_f64 v[49:50], v[95:96], v[103:104], -v[45:46]
	v_fma_f64 v[51:52], v[93:94], v[103:104], v[31:32]
	v_fma_f64 v[21:22], v[35:36], v[37:38], v[21:22]
	v_mul_f64 v[25:26], v[77:78], v[27:28]
	v_mul_f64 v[27:28], v[99:100], v[27:28]
	s_waitcnt vmcnt(6)
	v_mul_f64 v[35:36], v[53:54], v[59:60]
	v_fma_f64 v[45:46], v[97:98], v[17:18], -v[47:48]
	v_fma_f64 v[47:48], v[75:76], v[17:18], v[19:20]
	s_waitcnt vmcnt(4)
	v_mul_f64 v[17:18], v[61:62], v[67:68]
	v_fma_f64 v[33:34], v[33:34], v[37:38], -v[39:40]
	v_mul_f64 v[37:38], v[89:90], v[21:22]
	v_fma_f64 v[29:30], v[99:100], v[23:24], -v[25:26]
	v_mul_f64 v[19:20], v[55:56], v[59:60]
	v_fma_f64 v[31:32], v[77:78], v[23:24], v[27:28]
	s_waitcnt vmcnt(2)
	v_mul_f64 v[23:24], v[117:118], v[123:124]
	v_fma_f64 v[27:28], v[55:56], v[57:58], v[35:36]
	v_mul_f64 v[35:36], v[63:64], v[67:68]
	v_fma_f64 v[17:18], v[63:64], v[65:66], v[17:18]
	v_fma_f64 v[25:26], v[91:92], v[33:34], -v[37:38]
	v_mul_f64 v[21:22], v[91:92], v[21:22]
	s_waitcnt vmcnt(0)
	v_mul_f64 v[55:56], v[105:106], v[127:128]
	v_fma_f64 v[19:20], v[53:54], v[57:58], -v[19:20]
	v_mul_f64 v[37:38], v[119:120], v[123:124]
	v_fma_f64 v[39:40], v[119:120], v[121:122], v[23:24]
	v_mul_f64 v[23:24], v[87:88], v[27:28]
	v_mul_f64 v[53:54], v[85:86], v[27:28]
	;; [unrolled: 1-line block ×3, first 2 shown]
	v_fma_f64 v[57:58], v[61:62], v[65:66], -v[35:36]
	v_fma_f64 v[55:56], v[107:108], v[125:126], v[55:56]
	v_mul_f64 v[59:60], v[83:84], v[17:18]
	v_mul_f64 v[17:18], v[81:82], v[17:18]
	v_fma_f64 v[37:38], v[117:118], v[121:122], -v[37:38]
	v_mul_f64 v[61:62], v[73:74], v[39:40]
	v_fma_f64 v[27:28], v[89:90], v[33:34], v[21:22]
	v_fma_f64 v[33:34], v[85:86], v[19:20], -v[23:24]
	v_fma_f64 v[35:36], v[87:88], v[19:20], v[53:54]
	v_mul_f64 v[19:20], v[79:80], v[39:40]
	v_fma_f64 v[39:40], v[105:106], v[125:126], -v[63:64]
	v_mul_f64 v[53:54], v[71:72], v[55:56]
	v_fma_f64 v[21:22], v[81:82], v[57:58], -v[59:60]
	v_fma_f64 v[23:24], v[83:84], v[57:58], v[17:18]
	v_mul_lo_u32 v57, s12, v0
	v_fma_f64 v[17:18], v[79:80], v[37:38], -v[61:62]
	v_mul_f64 v[55:56], v[69:70], v[55:56]
	v_fma_f64 v[19:20], v[73:74], v[37:38], v[19:20]
	v_fma_f64 v[37:38], v[69:70], v[39:40], -v[53:54]
	v_add_u32_e32 v54, 13, v0
	v_mul_lo_u32 v54, s12, v54
	v_add_lshl_u32 v53, v113, v57, 4
	v_cndmask_b32_e32 v53, -1, v53, vcc
	buffer_store_dwordx4 v[13:16], v53, s[8:11], s13 offen
	v_add_u32_e32 v13, 26, v0
	v_add_lshl_u32 v14, v113, v54, 4
	v_mul_lo_u32 v13, s12, v13
	v_cndmask_b32_e32 v14, -1, v14, vcc
	buffer_store_dwordx4 v[9:12], v14, s[8:11], s13 offen
	v_add_u32_e32 v10, 39, v0
	v_mul_lo_u32 v10, s12, v10
	v_add_lshl_u32 v9, v113, v13, 4
	v_cndmask_b32_e32 v9, -1, v9, vcc
	buffer_store_dwordx4 v[5:8], v9, s[8:11], s13 offen
	v_add_u32_e32 v5, 52, v0
	v_add_lshl_u32 v6, v113, v10, 4
	v_mul_lo_u32 v5, s12, v5
	v_cndmask_b32_e32 v6, -1, v6, vcc
	buffer_store_dwordx4 v[1:4], v6, s[8:11], s13 offen
	;; [unrolled: 10-line block ×4, first 2 shown]
	v_add_u32_e32 v2, 0x75, v0
	v_mul_lo_u32 v2, s12, v2
	v_add_lshl_u32 v1, v113, v1, 4
	v_cndmask_b32_e32 v1, -1, v1, vcc
	buffer_store_dwordx4 v[25:28], v1, s[8:11], s13 offen
	v_add_u32_e32 v1, 0x82, v0
	v_add_lshl_u32 v2, v113, v2, 4
	v_fma_f64 v[39:40], v[71:72], v[39:40], v[55:56]
	v_mul_lo_u32 v1, s12, v1
	v_cndmask_b32_e32 v2, -1, v2, vcc
	buffer_store_dwordx4 v[33:36], v2, s[8:11], s13 offen
	v_add_u32_e32 v2, 0x8f, v0
	v_add_u32_e32 v0, 0x9c, v0
	v_mul_lo_u32 v2, s12, v2
	v_mul_lo_u32 v0, s12, v0
	v_add_lshl_u32 v1, v113, v1, 4
	v_cndmask_b32_e32 v1, -1, v1, vcc
	buffer_store_dwordx4 v[21:24], v1, s[8:11], s13 offen
	v_add_lshl_u32 v1, v113, v2, 4
	v_add_lshl_u32 v0, v113, v0, 4
	v_cndmask_b32_e32 v1, -1, v1, vcc
	v_cndmask_b32_e32 v0, -1, v0, vcc
	buffer_store_dwordx4 v[17:20], v1, s[8:11], s13 offen
	buffer_store_dwordx4 v[37:40], v0, s[8:11], s13 offen
	s_endpgm
	.section	.rodata,"a",@progbits
	.p2align	6, 0x0
	.amdhsa_kernel fft_rtc_fwd_len169_factors_13_13_wgs_156_tpt_13_dp_ip_CI_sbcc_twdbase8_2step_dirReg_intrinsicReadWrite
		.amdhsa_group_segment_fixed_size 0
		.amdhsa_private_segment_fixed_size 0
		.amdhsa_kernarg_size 96
		.amdhsa_user_sgpr_count 6
		.amdhsa_user_sgpr_private_segment_buffer 1
		.amdhsa_user_sgpr_dispatch_ptr 0
		.amdhsa_user_sgpr_queue_ptr 0
		.amdhsa_user_sgpr_kernarg_segment_ptr 1
		.amdhsa_user_sgpr_dispatch_id 0
		.amdhsa_user_sgpr_flat_scratch_init 0
		.amdhsa_user_sgpr_private_segment_size 0
		.amdhsa_uses_dynamic_stack 0
		.amdhsa_system_sgpr_private_segment_wavefront_offset 0
		.amdhsa_system_sgpr_workgroup_id_x 1
		.amdhsa_system_sgpr_workgroup_id_y 0
		.amdhsa_system_sgpr_workgroup_id_z 0
		.amdhsa_system_sgpr_workgroup_info 0
		.amdhsa_system_vgpr_workitem_id 0
		.amdhsa_next_free_vgpr 129
		.amdhsa_next_free_sgpr 48
		.amdhsa_reserve_vcc 1
		.amdhsa_reserve_flat_scratch 0
		.amdhsa_float_round_mode_32 0
		.amdhsa_float_round_mode_16_64 0
		.amdhsa_float_denorm_mode_32 3
		.amdhsa_float_denorm_mode_16_64 3
		.amdhsa_dx10_clamp 1
		.amdhsa_ieee_mode 1
		.amdhsa_fp16_overflow 0
		.amdhsa_exception_fp_ieee_invalid_op 0
		.amdhsa_exception_fp_denorm_src 0
		.amdhsa_exception_fp_ieee_div_zero 0
		.amdhsa_exception_fp_ieee_overflow 0
		.amdhsa_exception_fp_ieee_underflow 0
		.amdhsa_exception_fp_ieee_inexact 0
		.amdhsa_exception_int_div_zero 0
	.end_amdhsa_kernel
	.text
.Lfunc_end0:
	.size	fft_rtc_fwd_len169_factors_13_13_wgs_156_tpt_13_dp_ip_CI_sbcc_twdbase8_2step_dirReg_intrinsicReadWrite, .Lfunc_end0-fft_rtc_fwd_len169_factors_13_13_wgs_156_tpt_13_dp_ip_CI_sbcc_twdbase8_2step_dirReg_intrinsicReadWrite
                                        ; -- End function
	.section	.AMDGPU.csdata,"",@progbits
; Kernel info:
; codeLenInByte = 11772
; NumSgprs: 52
; NumVgprs: 129
; ScratchSize: 0
; MemoryBound: 0
; FloatMode: 240
; IeeeMode: 1
; LDSByteSize: 0 bytes/workgroup (compile time only)
; SGPRBlocks: 6
; VGPRBlocks: 32
; NumSGPRsForWavesPerEU: 52
; NumVGPRsForWavesPerEU: 129
; Occupancy: 1
; WaveLimiterHint : 0
; COMPUTE_PGM_RSRC2:SCRATCH_EN: 0
; COMPUTE_PGM_RSRC2:USER_SGPR: 6
; COMPUTE_PGM_RSRC2:TRAP_HANDLER: 0
; COMPUTE_PGM_RSRC2:TGID_X_EN: 1
; COMPUTE_PGM_RSRC2:TGID_Y_EN: 0
; COMPUTE_PGM_RSRC2:TGID_Z_EN: 0
; COMPUTE_PGM_RSRC2:TIDIG_COMP_CNT: 0
	.type	__hip_cuid_4ae9f0be0728566a,@object ; @__hip_cuid_4ae9f0be0728566a
	.section	.bss,"aw",@nobits
	.globl	__hip_cuid_4ae9f0be0728566a
__hip_cuid_4ae9f0be0728566a:
	.byte	0                               ; 0x0
	.size	__hip_cuid_4ae9f0be0728566a, 1

	.ident	"AMD clang version 19.0.0git (https://github.com/RadeonOpenCompute/llvm-project roc-6.4.0 25133 c7fe45cf4b819c5991fe208aaa96edf142730f1d)"
	.section	".note.GNU-stack","",@progbits
	.addrsig
	.addrsig_sym __hip_cuid_4ae9f0be0728566a
	.amdgpu_metadata
---
amdhsa.kernels:
  - .args:
      - .actual_access:  read_only
        .address_space:  global
        .offset:         0
        .size:           8
        .value_kind:     global_buffer
      - .address_space:  global
        .offset:         8
        .size:           8
        .value_kind:     global_buffer
      - .offset:         16
        .size:           8
        .value_kind:     by_value
      - .actual_access:  read_only
        .address_space:  global
        .offset:         24
        .size:           8
        .value_kind:     global_buffer
      - .actual_access:  read_only
        .address_space:  global
        .offset:         32
        .size:           8
        .value_kind:     global_buffer
      - .offset:         40
        .size:           8
        .value_kind:     by_value
      - .actual_access:  read_only
        .address_space:  global
        .offset:         48
        .size:           8
        .value_kind:     global_buffer
      - .actual_access:  read_only
        .address_space:  global
        .offset:         56
        .size:           8
        .value_kind:     global_buffer
      - .offset:         64
        .size:           4
        .value_kind:     by_value
      - .actual_access:  read_only
        .address_space:  global
        .offset:         72
        .size:           8
        .value_kind:     global_buffer
      - .actual_access:  read_only
        .address_space:  global
        .offset:         80
        .size:           8
        .value_kind:     global_buffer
      - .address_space:  global
        .offset:         88
        .size:           8
        .value_kind:     global_buffer
    .group_segment_fixed_size: 0
    .kernarg_segment_align: 8
    .kernarg_segment_size: 96
    .language:       OpenCL C
    .language_version:
      - 2
      - 0
    .max_flat_workgroup_size: 156
    .name:           fft_rtc_fwd_len169_factors_13_13_wgs_156_tpt_13_dp_ip_CI_sbcc_twdbase8_2step_dirReg_intrinsicReadWrite
    .private_segment_fixed_size: 0
    .sgpr_count:     52
    .sgpr_spill_count: 0
    .symbol:         fft_rtc_fwd_len169_factors_13_13_wgs_156_tpt_13_dp_ip_CI_sbcc_twdbase8_2step_dirReg_intrinsicReadWrite.kd
    .uniform_work_group_size: 1
    .uses_dynamic_stack: false
    .vgpr_count:     129
    .vgpr_spill_count: 0
    .wavefront_size: 64
amdhsa.target:   amdgcn-amd-amdhsa--gfx906
amdhsa.version:
  - 1
  - 2
...

	.end_amdgpu_metadata
